;; amdgpu-corpus repo=ROCm/rocFFT kind=compiled arch=gfx1030 opt=O3
	.text
	.amdgcn_target "amdgcn-amd-amdhsa--gfx1030"
	.amdhsa_code_object_version 6
	.protected	bluestein_single_fwd_len6144_dim1_sp_op_CI_CI ; -- Begin function bluestein_single_fwd_len6144_dim1_sp_op_CI_CI
	.globl	bluestein_single_fwd_len6144_dim1_sp_op_CI_CI
	.p2align	8
	.type	bluestein_single_fwd_len6144_dim1_sp_op_CI_CI,@function
bluestein_single_fwd_len6144_dim1_sp_op_CI_CI: ; @bluestein_single_fwd_len6144_dim1_sp_op_CI_CI
; %bb.0:
	s_load_dwordx4 s[0:3], s[4:5], 0x28
	s_mov_b32 s7, 0
	s_waitcnt lgkmcnt(0)
	v_cmp_lt_u64_e64 s0, s[6:7], s[0:1]
	s_and_saveexec_b32 s1, s0
	s_cbranch_execz .LBB0_23
; %bb.1:
	s_clause 0x1
	s_load_dwordx2 s[12:13], s[4:5], 0x0
	s_load_dwordx2 s[14:15], s[4:5], 0x38
	v_mov_b32_e32 v66, s7
	v_mov_b32_e32 v65, s6
	v_cmp_gt_u32_e32 vcc_lo, 0x180, v0
	v_lshlrev_b32_e32 v76, 3, v0
	s_and_saveexec_b32 s6, vcc_lo
	s_cbranch_execz .LBB0_3
; %bb.2:
	s_load_dwordx2 s[0:1], s[4:5], 0x18
	s_waitcnt lgkmcnt(0)
	v_add_co_u32 v61, s7, s12, v76
	v_add_co_ci_u32_e64 v62, null, s13, 0, s7
	v_or_b32_e32 v9, 0x3000, v76
	v_or_b32_e32 v21, 0x6000, v76
	global_load_dwordx2 v[1:2], v76, s[12:13]
	v_or_b32_e32 v55, 0x9000, v76
	s_clause 0x1
	global_load_dwordx2 v[9:10], v9, s[12:13]
	global_load_dwordx2 v[21:22], v21, s[12:13]
	s_load_dwordx4 s[8:11], s[0:1], 0x0
	v_add_co_u32 v3, s0, 0x800, v61
	v_add_co_ci_u32_e64 v4, s0, 0, v62, s0
	v_add_co_u32 v5, s0, 0x1800, v61
	v_add_co_ci_u32_e64 v6, s0, 0, v62, s0
	;; [unrolled: 2-line block ×5, first 2 shown]
	s_waitcnt lgkmcnt(0)
	v_mad_u64_u32 v[15:16], null, s10, v65, 0
	v_mad_u64_u32 v[17:18], null, s8, v0, 0
	v_add_co_u32 v19, s0, 0x5000, v61
	v_add_co_ci_u32_e64 v20, s0, 0, v62, s0
	v_add_co_u32 v23, s0, 0x6800, v61
	v_mad_u64_u32 v[25:26], null, s11, v65, v[16:17]
	v_mad_u64_u32 v[28:29], null, s9, v0, v[18:19]
	v_add_co_ci_u32_e64 v24, s0, 0, v62, s0
	v_add_co_u32 v26, s0, 0x7800, v61
	v_mov_b32_e32 v16, v25
	v_add_co_ci_u32_e64 v27, s0, 0, v62, s0
	v_mov_b32_e32 v18, v28
	v_add_co_u32 v29, s0, 0x8000, v61
	v_lshlrev_b64 v[15:16], 3, v[15:16]
	v_add_co_ci_u32_e64 v30, s0, 0, v62, s0
	v_lshlrev_b64 v[17:18], 3, v[17:18]
	s_mul_i32 s1, s9, 0xc00
	s_mul_hi_u32 s7, s8, 0xc00
	v_add_co_u32 v15, s0, s2, v15
	v_add_co_ci_u32_e64 v16, s0, s3, v16, s0
	s_mul_i32 s2, s8, 0xc00
	v_add_co_u32 v15, s0, v15, v17
	v_add_co_ci_u32_e64 v16, s0, v16, v18, s0
	s_add_i32 s7, s7, s1
	v_add_co_u32 v17, s0, v15, s2
	v_add_co_ci_u32_e64 v18, s0, s7, v16, s0
	s_clause 0x2
	global_load_dwordx2 v[3:4], v[3:4], off offset:1024
	global_load_dwordx2 v[5:6], v[5:6], off
	global_load_dwordx2 v[7:8], v[7:8], off offset:1024
	v_add_co_u32 v31, s0, v17, s2
	v_add_co_ci_u32_e64 v32, s0, s7, v18, s0
	global_load_dwordx2 v[25:26], v[26:27], off
	v_add_co_u32 v33, s0, v31, s2
	v_add_co_ci_u32_e64 v34, s0, s7, v32, s0
	s_clause 0x3
	global_load_dwordx2 v[11:12], v[11:12], off offset:1024
	global_load_dwordx2 v[13:14], v[13:14], off
	global_load_dwordx2 v[19:20], v[19:20], off offset:1024
	global_load_dwordx2 v[23:24], v[23:24], off offset:1024
	v_add_co_u32 v35, s0, v33, s2
	v_add_co_ci_u32_e64 v36, s0, s7, v34, s0
	s_clause 0x1
	global_load_dwordx2 v[15:16], v[15:16], off
	global_load_dwordx2 v[17:18], v[17:18], off
	v_add_co_u32 v27, s0, v35, s2
	v_add_co_ci_u32_e64 v28, s0, s7, v36, s0
	s_clause 0x2
	global_load_dwordx2 v[31:32], v[31:32], off
	global_load_dwordx2 v[33:34], v[33:34], off
	;; [unrolled: 1-line block ×3, first 2 shown]
	v_add_co_u32 v37, s0, v27, s2
	v_add_co_ci_u32_e64 v38, s0, s7, v28, s0
	global_load_dwordx2 v[27:28], v[27:28], off
	v_add_co_u32 v39, s0, v37, s2
	v_add_co_ci_u32_e64 v40, s0, s7, v38, s0
	global_load_dwordx2 v[37:38], v[37:38], off
	v_add_co_u32 v41, s0, v39, s2
	v_add_co_ci_u32_e64 v42, s0, s7, v40, s0
	v_add_co_u32 v43, s0, v41, s2
	v_add_co_ci_u32_e64 v44, s0, s7, v42, s0
	;; [unrolled: 2-line block ×4, first 2 shown]
	global_load_dwordx2 v[39:40], v[39:40], off
	global_load_dwordx2 v[41:42], v[41:42], off
	;; [unrolled: 1-line block ×5, first 2 shown]
	v_add_co_u32 v47, s0, v47, s2
	v_add_co_ci_u32_e64 v48, s0, s7, v48, s0
	v_add_co_u32 v51, s0, v47, s2
	v_add_co_ci_u32_e64 v52, s0, s7, v48, s0
	;; [unrolled: 2-line block ×3, first 2 shown]
	global_load_dwordx2 v[29:30], v[29:30], off offset:1024
	global_load_dwordx2 v[47:48], v[47:48], off
	global_load_dwordx2 v[55:56], v55, s[12:13]
	global_load_dwordx2 v[57:58], v[51:52], off
	global_load_dwordx2 v[53:54], v[53:54], off offset:1024
	v_add_co_u32 v51, s0, v51, s2
	v_add_co_ci_u32_e64 v52, s0, s7, v52, s0
	v_add_co_u32 v59, s0, 0xa800, v61
	v_add_co_ci_u32_e64 v60, s0, 0, v62, s0
	;; [unrolled: 2-line block ×4, first 2 shown]
	global_load_dwordx2 v[51:52], v[51:52], off
	s_clause 0x1
	global_load_dwordx2 v[59:60], v[59:60], off
	global_load_dwordx2 v[61:62], v[61:62], off offset:1024
	global_load_dwordx2 v[63:64], v[63:64], off
	s_waitcnt vmcnt(20)
	v_mul_f32_e32 v66, v16, v2
	v_mul_f32_e32 v67, v15, v2
	s_waitcnt vmcnt(19)
	v_mul_f32_e32 v2, v18, v4
	v_fmac_f32_e32 v66, v15, v1
	v_fma_f32 v67, v16, v1, -v67
	v_mul_f32_e32 v1, v17, v4
	s_waitcnt vmcnt(18)
	v_mul_f32_e32 v4, v32, v6
	v_mul_f32_e32 v15, v31, v6
	v_fmac_f32_e32 v2, v17, v3
	s_waitcnt vmcnt(17)
	v_mul_f32_e32 v6, v34, v8
	v_fma_f32 v3, v18, v3, -v1
	v_mul_f32_e32 v1, v33, v8
	v_fmac_f32_e32 v4, v31, v5
	v_fma_f32 v5, v32, v5, -v15
	s_waitcnt vmcnt(16)
	v_mul_f32_e32 v8, v36, v10
	v_mul_f32_e32 v15, v35, v10
	s_waitcnt vmcnt(15)
	v_mul_f32_e32 v10, v28, v12
	v_mul_f32_e32 v12, v27, v12
	v_fmac_f32_e32 v6, v33, v7
	v_fma_f32 v7, v34, v7, -v1
	v_fmac_f32_e32 v8, v35, v9
	v_fma_f32 v9, v36, v9, -v15
	;; [unrolled: 2-line block ×3, first 2 shown]
	ds_write2st64_b64 v76, v[66:67], v[2:3] offset1:6
	ds_write2st64_b64 v76, v[4:5], v[6:7] offset0:12 offset1:18
	s_waitcnt vmcnt(14)
	v_mul_f32_e32 v1, v38, v14
	v_mul_f32_e32 v2, v37, v14
	ds_write2st64_b64 v76, v[8:9], v[10:11] offset0:24 offset1:30
	v_fmac_f32_e32 v1, v37, v13
	v_fma_f32 v2, v38, v13, -v2
	s_waitcnt vmcnt(13)
	v_mul_f32_e32 v3, v40, v20
	v_mul_f32_e32 v4, v39, v20
	s_waitcnt vmcnt(12)
	v_mul_f32_e32 v5, v42, v22
	v_mul_f32_e32 v6, v41, v22
	;; [unrolled: 3-line block ×4, first 2 shown]
	v_fmac_f32_e32 v3, v39, v19
	v_fma_f32 v4, v40, v19, -v4
	v_fmac_f32_e32 v5, v41, v21
	v_fma_f32 v6, v42, v21, -v6
	;; [unrolled: 2-line block ×3, first 2 shown]
	s_waitcnt vmcnt(8)
	v_mul_f32_e32 v11, v50, v30
	v_mul_f32_e32 v12, v49, v30
	s_waitcnt vmcnt(6)
	v_mul_f32_e32 v13, v48, v56
	v_mul_f32_e32 v14, v47, v56
	;; [unrolled: 3-line block ×3, first 2 shown]
	v_fmac_f32_e32 v9, v45, v25
	v_fma_f32 v10, v46, v25, -v10
	v_fmac_f32_e32 v11, v49, v29
	v_fma_f32 v12, v50, v29, -v12
	;; [unrolled: 2-line block ×4, first 2 shown]
	s_waitcnt vmcnt(2)
	v_mul_f32_e32 v17, v52, v60
	v_mul_f32_e32 v18, v51, v60
	s_waitcnt vmcnt(0)
	v_mul_f32_e32 v19, v64, v62
	v_mul_f32_e32 v20, v63, v62
	v_fmac_f32_e32 v17, v51, v59
	v_fma_f32 v18, v52, v59, -v18
	v_fmac_f32_e32 v19, v63, v61
	v_fma_f32 v20, v64, v61, -v20
	ds_write2st64_b64 v76, v[1:2], v[3:4] offset0:36 offset1:42
	ds_write2st64_b64 v76, v[5:6], v[7:8] offset0:48 offset1:54
	;; [unrolled: 1-line block ×5, first 2 shown]
.LBB0_3:
	s_or_b32 exec_lo, exec_lo, s6
	s_load_dwordx2 s[0:1], s[4:5], 0x20
	s_waitcnt lgkmcnt(0)
	s_barrier
	buffer_gl0_inv
                                        ; implicit-def: $vgpr27
                                        ; implicit-def: $vgpr23
                                        ; implicit-def: $vgpr19
                                        ; implicit-def: $vgpr31
                                        ; implicit-def: $vgpr7
                                        ; implicit-def: $vgpr15
                                        ; implicit-def: $vgpr3
                                        ; implicit-def: $vgpr11
	s_and_saveexec_b32 s2, vcc_lo
	s_cbranch_execz .LBB0_5
; %bb.4:
	ds_read2st64_b64 v[9:12], v76 offset1:6
	ds_read2st64_b64 v[1:4], v76 offset0:12 offset1:18
	ds_read2st64_b64 v[17:20], v76 offset0:24 offset1:72
	;; [unrolled: 1-line block ×7, first 2 shown]
.LBB0_5:
	s_or_b32 exec_lo, exec_lo, s2
	s_waitcnt lgkmcnt(3)
	v_sub_f32_e32 v7, v9, v7
	v_sub_f32_e32 v19, v17, v19
	s_waitcnt lgkmcnt(2)
	v_sub_f32_e32 v36, v12, v30
	s_waitcnt lgkmcnt(1)
	v_sub_f32_e32 v24, v14, v24
	v_sub_f32_e32 v8, v10, v8
	v_fma_f32 v33, v9, 2.0, -v7
	v_sub_f32_e32 v20, v18, v20
	v_sub_f32_e32 v31, v1, v31
	;; [unrolled: 1-line block ×3, first 2 shown]
	v_fma_f32 v9, v17, 2.0, -v19
	s_waitcnt lgkmcnt(0)
	v_sub_f32_e32 v17, v15, v25
	v_sub_f32_e32 v26, v16, v26
	;; [unrolled: 1-line block ×4, first 2 shown]
	v_fma_f32 v37, v12, 2.0, -v36
	v_fma_f32 v14, v14, 2.0, -v24
	v_sub_f32_e32 v22, v4, v22
	v_sub_f32_e32 v28, v6, v28
	v_fma_f32 v10, v10, 2.0, -v8
	v_fma_f32 v18, v18, 2.0, -v20
	v_fma_f32 v35, v2, 2.0, -v32
	v_fma_f32 v15, v15, 2.0, -v17
	v_fma_f32 v16, v16, 2.0, -v26
	v_fma_f32 v11, v11, 2.0, -v29
	v_fma_f32 v13, v13, 2.0, -v23
	v_sub_f32_e32 v21, v3, v21
	v_sub_f32_e32 v27, v5, v27
	;; [unrolled: 1-line block ×3, first 2 shown]
	v_fma_f32 v39, v4, 2.0, -v22
	v_fma_f32 v41, v6, 2.0, -v28
	v_sub_f32_e32 v12, v7, v20
	v_add_f32_e32 v25, v19, v8
	v_sub_f32_e32 v19, v31, v26
	v_add_f32_e32 v17, v17, v32
	v_sub_f32_e32 v26, v37, v14
	v_fma_f32 v34, v1, 2.0, -v31
	v_sub_f32_e32 v9, v10, v18
	v_fma_f32 v1, v33, 2.0, -v2
	v_fma_f32 v4, v7, 2.0, -v12
	;; [unrolled: 1-line block ×3, first 2 shown]
	v_sub_f32_e32 v13, v11, v13
	v_fma_f32 v33, v31, 2.0, -v19
	v_sub_f32_e32 v30, v29, v24
	v_fma_f32 v24, v32, 2.0, -v17
	v_fma_f32 v6, v37, 2.0, -v26
	v_add_f32_e32 v31, v23, v36
	v_sub_f32_e32 v37, v39, v41
	v_sub_f32_e32 v41, v21, v28
	v_add_f32_e32 v42, v27, v22
	v_fma_f32 v38, v3, 2.0, -v21
	v_fma_f32 v40, v5, 2.0, -v27
	v_sub_f32_e32 v18, v34, v15
	v_fma_f32 v3, v10, 2.0, -v9
	v_sub_f32_e32 v10, v35, v16
	v_fma_f32 v5, v11, 2.0, -v13
	v_fma_f32 v11, v29, 2.0, -v30
	;; [unrolled: 1-line block ×5, first 2 shown]
	v_fmamk_f32 v27, v24, 0xbf3504f3, v7
	s_load_dwordx2 s[2:3], s[4:5], 0x8
	v_fma_f32 v20, v35, 2.0, -v10
	v_sub_f32_e32 v23, v38, v40
	v_fma_f32 v29, v39, 2.0, -v37
	v_fmamk_f32 v16, v33, 0xbf3504f3, v4
	v_fmamk_f32 v35, v19, 0x3f3504f3, v12
	v_fmac_f32_e32 v27, 0x3f3504f3, v33
	v_fmamk_f32 v36, v17, 0x3f3504f3, v25
	v_fmamk_f32 v32, v21, 0xbf3504f3, v11
	;; [unrolled: 1-line block ×5, first 2 shown]
	v_fma_f32 v8, v34, 2.0, -v18
	v_fma_f32 v28, v38, 2.0, -v23
	v_fmac_f32_e32 v16, 0xbf3504f3, v24
	v_sub_f32_e32 v10, v2, v10
	v_add_f32_e32 v34, v18, v9
	v_fmac_f32_e32 v35, 0xbf3504f3, v17
	v_fmac_f32_e32 v36, 0x3f3504f3, v19
	;; [unrolled: 1-line block ×4, first 2 shown]
	v_sub_f32_e32 v37, v13, v37
	v_add_f32_e32 v38, v23, v26
	v_fmac_f32_e32 v39, 0xbf3504f3, v42
	v_fmac_f32_e32 v40, 0x3f3504f3, v41
	v_sub_f32_e32 v8, v1, v8
	v_sub_f32_e32 v14, v3, v20
	;; [unrolled: 1-line block ×4, first 2 shown]
	v_fmamk_f32 v19, v32, 0x3ec3ef15, v16
	v_fmamk_f32 v20, v33, 0x3ec3ef15, v27
	;; [unrolled: 1-line block ×6, first 2 shown]
	v_sub_f32_e32 v17, v8, v29
	v_add_f32_e32 v18, v28, v14
	v_fmac_f32_e32 v19, 0xbf6c835e, v33
	v_fmac_f32_e32 v20, 0x3f6c835e, v32
	;; [unrolled: 1-line block ×6, first 2 shown]
	s_waitcnt lgkmcnt(0)
	s_barrier
	buffer_gl0_inv
	s_and_saveexec_b32 s4, vcc_lo
	s_cbranch_execz .LBB0_7
; %bb.6:
	v_fma_f32 v25, v25, 2.0, -v36
	v_fma_f32 v31, v31, 2.0, -v40
	v_fma_f32 v9, v9, 2.0, -v34
	v_fma_f32 v26, v26, 2.0, -v38
	v_fma_f32 v41, v36, 2.0, -v24
	v_fma_f32 v30, v30, 2.0, -v39
	v_fmamk_f32 v36, v31, 0xbec3ef15, v25
	v_fma_f32 v39, v34, 2.0, -v22
	v_fmamk_f32 v34, v26, 0xbf3504f3, v9
	v_fma_f32 v13, v13, 2.0, -v37
	v_fma_f32 v45, v27, 2.0, -v20
	v_fmac_f32_e32 v36, 0x3f6c835e, v30
	v_fma_f32 v7, v7, 2.0, -v27
	v_fma_f32 v11, v11, 2.0, -v32
	v_fmac_f32_e32 v34, 0x3f3504f3, v13
	v_fma_f32 v27, v4, 2.0, -v16
	v_fma_f32 v49, v25, 2.0, -v36
	;; [unrolled: 1-line block ×7, first 2 shown]
	v_fmamk_f32 v16, v25, 0xbf6c835e, v7
	v_fmamk_f32 v15, v11, 0xbf6c835e, v27
	v_fma_f32 v2, v3, 2.0, -v14
	v_fma_f32 v3, v6, 2.0, -v29
	;; [unrolled: 1-line block ×5, first 2 shown]
	v_fmamk_f32 v35, v30, 0xbec3ef15, v12
	v_fmamk_f32 v33, v13, 0xbf3504f3, v9
	v_fma_f32 v43, v14, 2.0, -v18
	v_fmac_f32_e32 v16, 0x3ec3ef15, v11
	v_fmac_f32_e32 v15, 0xbec3ef15, v25
	v_sub_f32_e32 v14, v2, v3
	v_sub_f32_e32 v13, v1, v4
	v_fmac_f32_e32 v35, 0xbf6c835e, v31
	v_fmac_f32_e32 v33, 0xbf3504f3, v26
	v_fma_f32 v4, v7, 2.0, -v16
	v_fma_f32 v3, v27, 2.0, -v15
	;; [unrolled: 1-line block ×4, first 2 shown]
	v_lshlrev_b32_e32 v5, 7, v0
	v_fma_f32 v48, v12, 2.0, -v35
	v_fma_f32 v46, v9, 2.0, -v33
	;; [unrolled: 1-line block ×4, first 2 shown]
	ds_write_b128 v5, v[1:4]
	ds_write_b128 v5, v[46:49] offset:16
	ds_write_b128 v5, v[42:45] offset:32
	;; [unrolled: 1-line block ×7, first 2 shown]
.LBB0_7:
	s_or_b32 exec_lo, exec_lo, s4
	v_and_b32_e32 v37, 15, v0
	s_load_dwordx4 s[4:7], s[0:1], 0x0
	s_waitcnt lgkmcnt(0)
	s_barrier
	buffer_gl0_inv
	v_mad_u64_u32 v[1:2], null, v37, 24, s[2:3]
	v_lshlrev_b32_e32 v33, 2, v0
	v_or_b32_e32 v49, 0x200, v0
	v_or_b32_e32 v77, 0x7000, v76
	s_clause 0x1
	global_load_dwordx4 v[13:16], v[1:2], off
	global_load_dwordx2 v[68:69], v[1:2], off offset:16
	ds_read2st64_b64 v[1:4], v76 offset0:16 offset1:24
	ds_read2st64_b64 v[5:8], v76 offset0:32 offset1:48
	;; [unrolled: 1-line block ×3, first 2 shown]
	ds_read2st64_b64 v[25:28], v76 offset1:8
	ds_read2st64_b64 v[29:32], v76 offset0:40 offset1:56
	v_and_or_b32 v38, 0x7c0, v33, v37
	v_or_b32_e32 v40, 0x1000, v33
	ds_read_b64 v[33:34], v76 offset:40960
	ds_read_b64 v[35:36], v76 offset:45056
	v_lshlrev_b32_e32 v39, 2, v49
	s_waitcnt vmcnt(0) lgkmcnt(0)
	v_lshlrev_b32_e32 v84, 3, v38
	s_barrier
	buffer_gl0_inv
	v_and_or_b32 v38, 0xfc0, v39, v37
	v_and_or_b32 v37, 0x17c0, v40, v37
	v_lshlrev_b32_e32 v83, 3, v38
	v_lshlrev_b32_e32 v82, 3, v37
	v_mul_f32_e32 v37, v4, v14
	v_mul_f32_e32 v38, v3, v14
	;; [unrolled: 1-line block ×18, first 2 shown]
	v_fma_f32 v3, v3, v13, -v37
	v_fmac_f32_e32 v38, v4, v13
	v_fma_f32 v4, v7, v15, -v39
	v_fmac_f32_e32 v40, v8, v15
	;; [unrolled: 2-line block ×9, first 2 shown]
	v_sub_f32_e32 v12, v25, v4
	v_sub_f32_e32 v29, v26, v40
	;; [unrolled: 1-line block ×12, first 2 shown]
	v_fma_f32 v25, v25, 2.0, -v12
	v_fma_f32 v26, v26, 2.0, -v29
	v_fma_f32 v33, v3, 2.0, -v4
	v_fma_f32 v34, v38, 2.0, -v7
	v_fma_f32 v38, v27, 2.0, -v30
	v_fma_f32 v39, v28, 2.0, -v31
	v_fma_f32 v27, v5, 2.0, -v6
	v_fma_f32 v28, v44, 2.0, -v8
	v_fma_f32 v40, v1, 2.0, -v32
	v_fma_f32 v41, v2, 2.0, -v37
	v_fma_f32 v42, v11, 2.0, -v9
	v_fma_f32 v43, v51, 2.0, -v10
	v_sub_f32_e32 v3, v12, v7
	v_add_f32_e32 v4, v29, v4
	v_sub_f32_e32 v5, v30, v8
	v_sub_f32_e32 v1, v25, v33
	;; [unrolled: 1-line block ×3, first 2 shown]
	v_add_f32_e32 v6, v31, v6
	v_sub_f32_e32 v35, v32, v10
	v_add_f32_e32 v36, v37, v9
	v_sub_f32_e32 v9, v38, v27
	v_sub_f32_e32 v10, v39, v28
	;; [unrolled: 1-line block ×4, first 2 shown]
	v_fma_f32 v7, v12, 2.0, -v3
	v_fma_f32 v8, v29, 2.0, -v4
	;; [unrolled: 1-line block ×12, first 2 shown]
	ds_write2_b64 v84, v[1:2], v[3:4] offset0:32 offset1:48
	ds_write2_b64 v83, v[9:10], v[5:6] offset0:32 offset1:48
	;; [unrolled: 1-line block ×3, first 2 shown]
	ds_write2_b64 v84, v[29:30], v[7:8] offset1:16
	ds_write2_b64 v83, v[31:32], v[11:12] offset1:16
	;; [unrolled: 1-line block ×3, first 2 shown]
	s_waitcnt lgkmcnt(0)
	s_barrier
	buffer_gl0_inv
	ds_read2st64_b64 v[29:32], v76 offset1:12
	ds_read2st64_b64 v[45:48], v76 offset0:24 offset1:36
	ds_read2st64_b64 v[41:44], v76 offset0:48 offset1:60
	;; [unrolled: 1-line block ×3, first 2 shown]
	v_mov_b32_e32 v50, 0
	v_cmp_gt_u64_e64 s0, 0x300, v[49:50]
	s_and_saveexec_b32 s1, s0
	s_cbranch_execz .LBB0_9
; %bb.8:
	ds_read2st64_b64 v[1:4], v76 offset0:68 offset1:80
	ds_read2st64_b64 v[25:28], v76 offset0:8 offset1:20
	;; [unrolled: 1-line block ×3, first 2 shown]
	ds_read_b64 v[17:18], v77
	ds_read_b64 v[23:24], v76 offset:47104
	s_waitcnt lgkmcnt(4)
	v_mov_b32_e32 v21, v3
	v_mov_b32_e32 v22, v4
	;; [unrolled: 1-line block ×4, first 2 shown]
.LBB0_9:
	s_or_b32 exec_lo, exec_lo, s1
	v_and_b32_e32 v81, 63, v0
	v_lshlrev_b32_e32 v85, 3, v49
	v_or_b32_e32 v79, 0x5000, v76
	v_or_b32_e32 v78, 0xb000, v76
	v_mad_u64_u32 v[50:51], null, v81, 56, s[2:3]
	s_clause 0x3
	global_load_dwordx4 v[5:8], v[50:51], off offset:384
	global_load_dwordx4 v[1:4], v[50:51], off offset:400
	;; [unrolled: 1-line block ×3, first 2 shown]
	global_load_dwordx2 v[66:67], v[50:51], off offset:432
	v_and_or_b32 v50, 0xe00, v76, v81
	s_waitcnt vmcnt(0) lgkmcnt(0)
	s_barrier
	buffer_gl0_inv
	v_lshlrev_b32_e32 v88, 3, v50
	v_mul_f32_e32 v49, v32, v6
	v_mul_f32_e32 v50, v31, v6
	;; [unrolled: 1-line block ×28, first 2 shown]
	v_fma_f32 v31, v31, v5, -v49
	v_fmac_f32_e32 v50, v32, v5
	v_fma_f32 v32, v45, v7, -v51
	v_fmac_f32_e32 v52, v46, v7
	;; [unrolled: 2-line block ×14, first 2 shown]
	v_sub_f32_e32 v21, v29, v41
	v_sub_f32_e32 v22, v30, v56
	;; [unrolled: 1-line block ×16, first 2 shown]
	v_fma_f32 v29, v29, 2.0, -v21
	v_fma_f32 v30, v30, 2.0, -v22
	;; [unrolled: 1-line block ×8, first 2 shown]
	v_sub_f32_e32 v46, v21, v24
	v_add_f32_e32 v47, v22, v23
	v_sub_f32_e32 v23, v34, v37
	v_add_f32_e32 v24, v35, v36
	v_fma_f32 v37, v25, 2.0, -v38
	v_fma_f32 v48, v26, 2.0, -v39
	;; [unrolled: 1-line block ×8, first 2 shown]
	v_sub_f32_e32 v17, v38, v17
	v_add_f32_e32 v19, v39, v19
	v_sub_f32_e32 v51, v40, v20
	v_add_f32_e32 v52, v41, v18
	v_sub_f32_e32 v53, v29, v32
	v_sub_f32_e32 v42, v30, v42
	v_fma_f32 v54, v21, 2.0, -v46
	v_fma_f32 v55, v22, 2.0, -v47
	v_sub_f32_e32 v32, v31, v44
	v_sub_f32_e32 v44, v43, v45
	v_fma_f32 v45, v34, 2.0, -v23
	v_fma_f32 v56, v35, 2.0, -v24
	v_fmamk_f32 v25, v23, 0x3f3504f3, v46
	v_fmamk_f32 v26, v24, 0x3f3504f3, v47
	v_sub_f32_e32 v18, v37, v28
	v_sub_f32_e32 v22, v48, v36
	v_fma_f32 v20, v38, 2.0, -v17
	v_fma_f32 v21, v39, 2.0, -v19
	v_sub_f32_e32 v34, v49, v27
	v_sub_f32_e32 v33, v50, v33
	v_fma_f32 v57, v40, 2.0, -v51
	v_fma_f32 v58, v41, 2.0, -v52
	;; [unrolled: 1-line block ×6, first 2 shown]
	v_fmamk_f32 v27, v45, 0xbf3504f3, v54
	v_fmamk_f32 v28, v56, 0xbf3504f3, v55
	;; [unrolled: 1-line block ×4, first 2 shown]
	v_sub_f32_e32 v29, v53, v44
	v_add_f32_e32 v30, v42, v32
	v_fmac_f32_e32 v25, 0xbf3504f3, v24
	v_fmac_f32_e32 v26, 0x3f3504f3, v23
	v_fma_f32 v23, v37, 2.0, -v18
	v_fma_f32 v24, v48, 2.0, -v22
	v_fma_f32 v37, v49, 2.0, -v34
	v_fma_f32 v48, v50, 2.0, -v33
	v_fmamk_f32 v39, v57, 0xbf3504f3, v20
	v_fmamk_f32 v40, v58, 0xbf3504f3, v21
	v_sub_f32_e32 v31, v59, v31
	v_sub_f32_e32 v32, v60, v38
	v_fmac_f32_e32 v27, 0xbf3504f3, v56
	v_fmac_f32_e32 v28, 0x3f3504f3, v45
	v_sub_f32_e32 v33, v18, v33
	v_add_f32_e32 v34, v22, v34
	v_fmac_f32_e32 v35, 0xbf3504f3, v52
	v_fmac_f32_e32 v36, 0x3f3504f3, v51
	v_fma_f32 v41, v53, 2.0, -v29
	v_fma_f32 v42, v42, 2.0, -v30
	;; [unrolled: 1-line block ×4, first 2 shown]
	v_sub_f32_e32 v37, v23, v37
	v_sub_f32_e32 v38, v24, v48
	v_fmac_f32_e32 v39, 0xbf3504f3, v58
	v_fmac_f32_e32 v40, 0x3f3504f3, v57
	v_fma_f32 v45, v59, 2.0, -v31
	v_fma_f32 v46, v60, 2.0, -v32
	;; [unrolled: 1-line block ×4, first 2 shown]
	ds_write2st64_b64 v88, v[41:42], v[43:44] offset0:2 offset1:3
	ds_write2st64_b64 v88, v[31:32], v[27:28] offset0:4 offset1:5
	ds_write2st64_b64 v88, v[45:46], v[47:48] offset1:1
	ds_write2st64_b64 v88, v[29:30], v[25:26] offset0:6 offset1:7
	s_and_saveexec_b32 s1, s0
	s_cbranch_execz .LBB0_11
; %bb.10:
	v_fma_f32 v25, v17, 2.0, -v35
	v_and_or_b32 v17, 0x1e00, v85, v81
	v_fma_f32 v21, v21, 2.0, -v40
	v_fma_f32 v20, v20, 2.0, -v39
	;; [unrolled: 1-line block ×4, first 2 shown]
	v_lshlrev_b32_e32 v17, 3, v17
	v_fma_f32 v26, v19, 2.0, -v36
	v_fma_f32 v19, v22, 2.0, -v34
	;; [unrolled: 1-line block ×3, first 2 shown]
	ds_write2st64_b64 v17, v[23:24], v[20:21] offset1:1
	ds_write2st64_b64 v17, v[18:19], v[25:26] offset0:2 offset1:3
	ds_write2st64_b64 v17, v[37:38], v[39:40] offset0:4 offset1:5
	;; [unrolled: 1-line block ×3, first 2 shown]
.LBB0_11:
	s_or_b32 exec_lo, exec_lo, s1
	v_lshlrev_b32_e32 v89, 4, v0
	s_waitcnt lgkmcnt(0)
	s_barrier
	buffer_gl0_inv
	v_add_co_u32 v53, s1, s2, v89
	v_add_co_ci_u32_e64 v54, null, s3, 0, s1
	v_add_co_u32 v17, s1, 0x800, v53
	v_add_co_ci_u32_e64 v18, s1, 0, v54, s1
	v_add_co_u32 v61, s1, v53, v76
	v_add_co_ci_u32_e64 v62, s1, 0, v54, s1
	global_load_dwordx4 v[17:20], v[17:18], off offset:1920
	ds_read2st64_b64 v[21:24], v76 offset1:8
	ds_read2st64_b64 v[25:28], v76 offset0:32 offset1:48
	ds_read2st64_b64 v[29:32], v76 offset0:64 offset1:72
	;; [unrolled: 1-line block ×3, first 2 shown]
	ds_read_b64 v[45:46], v76 offset:40960
	ds_read_b64 v[47:48], v78
	ds_read_b64 v[49:50], v79
	;; [unrolled: 1-line block ×3, first 2 shown]
	v_add_co_u32 v53, s1, 0x2f80, v61
	v_add_co_ci_u32_e64 v54, s1, 0, v62, s1
	v_add_co_u32 v55, s1, 0x2800, v61
	v_add_co_ci_u32_e64 v56, s1, 0, v62, s1
	v_add_co_u32 v57, s1, 0x5f80, v61
	v_add_co_ci_u32_e64 v58, s1, 0, v62, s1
	v_add_co_u32 v59, s1, 0x5800, v61
	v_add_co_ci_u32_e64 v60, s1, 0, v62, s1
	s_waitcnt vmcnt(0) lgkmcnt(0)
	s_barrier
	buffer_gl0_inv
	v_mul_f32_e32 v63, v26, v18
	v_mul_f32_e32 v64, v25, v18
	;; [unrolled: 1-line block ×16, first 2 shown]
	v_fma_f32 v25, v25, v17, -v63
	v_fmac_f32_e32 v64, v26, v17
	v_fma_f32 v26, v29, v19, -v70
	v_fmac_f32_e32 v71, v30, v19
	;; [unrolled: 2-line block ×8, first 2 shown]
	v_add_f32_e32 v46, v25, v26
	v_add_f32_e32 v49, v64, v71
	;; [unrolled: 1-line block ×5, first 2 shown]
	v_sub_f32_e32 v47, v64, v71
	v_add_f32_e32 v48, v22, v64
	v_add_f32_e32 v51, v23, v29
	v_sub_f32_e32 v63, v73, v75
	v_add_f32_e32 v64, v24, v73
	v_sub_f32_e32 v72, v29, v30
	v_add_f32_e32 v29, v41, v27
	v_add_f32_e32 v73, v27, v31
	v_sub_f32_e32 v74, v86, v90
	v_add_f32_e32 v80, v42, v86
	;; [unrolled: 3-line block ×4, first 2 shown]
	v_add_f32_e32 v92, v92, v94
	v_fma_f32 v21, -0.5, v46, v21
	v_fma_f32 v22, -0.5, v49, v22
	;; [unrolled: 1-line block ×3, first 2 shown]
	v_fmac_f32_e32 v24, -0.5, v70
	v_sub_f32_e32 v87, v27, v31
	v_add_f32_e32 v25, v32, v26
	v_add_f32_e32 v29, v29, v31
	v_fma_f32 v31, -0.5, v73, v41
	v_fma_f32 v32, -0.5, v86, v42
	v_sub_f32_e32 v97, v28, v45
	v_add_f32_e32 v26, v48, v71
	v_add_f32_e32 v41, v91, v45
	v_fma_f32 v43, -0.5, v93, v43
	v_fmac_f32_e32 v44, -0.5, v92
	v_fmamk_f32 v45, v47, 0x3f5db3d7, v21
	v_fmamk_f32 v46, v50, 0xbf5db3d7, v22
	v_add_f32_e32 v27, v51, v30
	v_add_f32_e32 v28, v64, v75
	v_fmac_f32_e32 v21, 0xbf5db3d7, v47
	v_fmac_f32_e32 v22, 0x3f5db3d7, v50
	v_fmamk_f32 v47, v63, 0x3f5db3d7, v23
	v_fmac_f32_e32 v23, 0xbf5db3d7, v63
	v_fmamk_f32 v48, v72, 0xbf5db3d7, v24
	v_fmac_f32_e32 v24, 0x3f5db3d7, v72
	v_add_f32_e32 v30, v80, v90
	v_fmamk_f32 v49, v74, 0x3f5db3d7, v31
	v_fmamk_f32 v50, v87, 0xbf5db3d7, v32
	v_add_f32_e32 v42, v96, v94
	v_fmac_f32_e32 v31, 0xbf5db3d7, v74
	v_fmac_f32_e32 v32, 0x3f5db3d7, v87
	v_fmamk_f32 v51, v95, 0x3f5db3d7, v43
	v_fmac_f32_e32 v43, 0xbf5db3d7, v95
	v_fmamk_f32 v52, v97, 0xbf5db3d7, v44
	v_fmac_f32_e32 v44, 0x3f5db3d7, v97
	ds_write2st64_b64 v76, v[25:26], v[45:46] offset1:8
	ds_write2st64_b64 v76, v[21:22], v[27:28] offset0:16 offset1:24
	ds_write_b64 v79, v[23:24]
	ds_write2st64_b64 v76, v[47:48], v[29:30] offset0:32 offset1:48
	ds_write_b64 v77, v[49:50]
	ds_write2st64_b64 v76, v[31:32], v[41:42] offset0:64 offset1:72
	ds_write_b64 v76, v[51:52] offset:40960
	ds_write_b64 v78, v[43:44]
	v_add_co_u32 v21, s1, 0x8800, v61
	v_add_co_ci_u32_e64 v22, s1, 0, v62, s1
	v_add_co_u32 v41, s1, 0x8f80, v61
	v_add_co_ci_u32_e64 v42, s1, 0, v62, s1
	s_waitcnt lgkmcnt(0)
	s_barrier
	buffer_gl0_inv
	s_clause 0x5
	global_load_dwordx4 v[25:28], v[55:56], off offset:1920
	global_load_dwordx2 v[74:75], v[53:54], off offset:16
	global_load_dwordx4 v[29:32], v[59:60], off offset:1920
	global_load_dwordx2 v[72:73], v[57:58], off offset:16
	global_load_dwordx4 v[21:24], v[21:22], off offset:1920
	global_load_dwordx2 v[70:71], v[41:42], off offset:16
	ds_read2st64_b64 v[41:44], v76 offset0:16 offset1:24
	ds_read2st64_b64 v[45:48], v76 offset0:32 offset1:48
	;; [unrolled: 1-line block ×3, first 2 shown]
	ds_read_b64 v[57:58], v77
	ds_read_b64 v[59:60], v76 offset:40960
	ds_read_b64 v[63:64], v78
	ds_read_b64 v[61:62], v79
	v_or_b32_e32 v53, 0x600, v0
	v_or_b32_e32 v54, 0xc00, v0
	;; [unrolled: 1-line block ×3, first 2 shown]
	v_lshlrev_b32_e32 v87, 3, v53
	v_lshlrev_b32_e32 v86, 3, v54
	;; [unrolled: 1-line block ×3, first 2 shown]
	ds_read2st64_b64 v[53:56], v76 offset1:8
	s_waitcnt vmcnt(5) lgkmcnt(7)
	v_mul_f32_e32 v90, v44, v26
	v_mul_f32_e32 v91, v43, v26
	s_waitcnt lgkmcnt(6)
	v_mul_f32_e32 v92, v48, v28
	v_mul_f32_e32 v93, v47, v28
	s_waitcnt vmcnt(4) lgkmcnt(5)
	v_mul_f32_e32 v94, v52, v75
	v_mul_f32_e32 v95, v51, v75
	s_waitcnt vmcnt(3)
	v_mul_f32_e32 v96, v46, v30
	v_mul_f32_e32 v97, v45, v30
	s_waitcnt lgkmcnt(4)
	v_mul_f32_e32 v98, v58, v32
	v_mul_f32_e32 v99, v57, v32
	s_waitcnt vmcnt(2) lgkmcnt(3)
	v_mul_f32_e32 v100, v60, v73
	v_mul_f32_e32 v101, v59, v73
	s_waitcnt vmcnt(1) lgkmcnt(1)
	v_mul_f32_e32 v102, v62, v22
	v_mul_f32_e32 v103, v61, v22
	;; [unrolled: 1-line block ×4, first 2 shown]
	s_waitcnt vmcnt(0)
	v_mul_f32_e32 v106, v64, v71
	v_mul_f32_e32 v107, v63, v71
	v_fma_f32 v43, v43, v25, -v90
	v_fmac_f32_e32 v91, v44, v25
	v_fma_f32 v44, v47, v27, -v92
	v_fmac_f32_e32 v93, v48, v27
	;; [unrolled: 2-line block ×9, first 2 shown]
	s_waitcnt lgkmcnt(0)
	v_sub_f32_e32 v52, v53, v44
	v_sub_f32_e32 v57, v54, v93
	;; [unrolled: 1-line block ×12, first 2 shown]
	v_fma_f32 v53, v53, 2.0, -v52
	v_fma_f32 v54, v54, 2.0, -v57
	;; [unrolled: 1-line block ×4, first 2 shown]
	v_sub_f32_e32 v43, v52, v47
	v_add_f32_e32 v44, v57, v44
	v_fma_f32 v90, v55, 2.0, -v58
	v_fma_f32 v91, v56, 2.0, -v61
	;; [unrolled: 1-line block ×4, first 2 shown]
	v_sub_f32_e32 v47, v58, v48
	v_fma_f32 v92, v41, 2.0, -v49
	v_fma_f32 v93, v42, 2.0, -v62
	;; [unrolled: 1-line block ×4, first 2 shown]
	v_add_f32_e32 v48, v61, v46
	v_sub_f32_e32 v59, v49, v59
	v_add_f32_e32 v60, v62, v50
	v_sub_f32_e32 v41, v53, v63
	v_sub_f32_e32 v42, v54, v64
	v_fma_f32 v51, v52, 2.0, -v43
	v_fma_f32 v52, v57, 2.0, -v44
	v_sub_f32_e32 v45, v90, v45
	v_sub_f32_e32 v46, v91, v55
	v_fma_f32 v55, v58, 2.0, -v47
	v_sub_f32_e32 v57, v92, v94
	v_sub_f32_e32 v58, v93, v95
	v_fma_f32 v56, v61, 2.0, -v48
	v_fma_f32 v63, v49, 2.0, -v59
	;; [unrolled: 1-line block ×9, first 2 shown]
	ds_write_b64 v76, v[47:48] offset:40960
	ds_write_b64 v78, v[59:60]
	ds_write2st64_b64 v76, v[55:56], v[41:42] offset0:32 offset1:48
	ds_write_b64 v77, v[45:46]
	ds_write_b64 v79, v[63:64]
	ds_write2st64_b64 v76, v[57:58], v[43:44] offset0:64 offset1:72
	ds_write2st64_b64 v76, v[49:50], v[53:54] offset1:8
	ds_write2st64_b64 v76, v[61:62], v[51:52] offset0:16 offset1:24
	s_waitcnt lgkmcnt(0)
	s_barrier
	buffer_gl0_inv
	s_and_saveexec_b32 s8, vcc_lo
	s_cbranch_execz .LBB0_13
; %bb.12:
	s_add_u32 s2, s12, 0xc000
	s_addc_u32 s3, s13, 0
	v_add_co_u32 v100, s1, s2, v76
	v_add_co_ci_u32_e64 v101, null, s3, 0, s1
	v_add_co_u32 v90, s1, 0x800, v100
	v_add_co_ci_u32_e64 v91, s1, 0, v101, s1
	v_add_co_u32 v92, s1, 0x1800, v100
	v_add_co_ci_u32_e64 v93, s1, 0, v101, s1
	;; [unrolled: 2-line block ×4, first 2 shown]
	s_clause 0x4
	global_load_dwordx2 v[122:123], v76, s[2:3]
	global_load_dwordx2 v[124:125], v[90:91], off offset:1024
	global_load_dwordx2 v[126:127], v[92:93], off
	global_load_dwordx2 v[128:129], v[94:95], off offset:1024
	global_load_dwordx2 v[130:131], v[96:97], off offset:1024
	v_add_co_u32 v90, s1, 0x4800, v100
	v_add_co_ci_u32_e64 v91, s1, 0, v101, s1
	v_add_co_u32 v92, s1, 0x5000, v100
	v_add_co_ci_u32_e64 v93, s1, 0, v101, s1
	;; [unrolled: 2-line block ×5, first 2 shown]
	s_clause 0x7
	global_load_dwordx2 v[132:133], v87, s[2:3]
	global_load_dwordx2 v[134:135], v86, s[2:3]
	;; [unrolled: 1-line block ×3, first 2 shown]
	global_load_dwordx2 v[138:139], v[90:91], off
	global_load_dwordx2 v[140:141], v[92:93], off offset:1024
	global_load_dwordx2 v[142:143], v[94:95], off offset:1024
	global_load_dwordx2 v[144:145], v[96:97], off
	global_load_dwordx2 v[146:147], v[98:99], off offset:1024
	v_add_co_u32 v90, s1, 0x9800, v100
	v_add_co_ci_u32_e64 v91, s1, 0, v101, s1
	v_add_co_u32 v92, s1, 0xa800, v100
	v_add_co_ci_u32_e64 v93, s1, 0, v101, s1
	;; [unrolled: 2-line block ×3, first 2 shown]
	s_clause 0x2
	global_load_dwordx2 v[148:149], v[90:91], off offset:1024
	global_load_dwordx2 v[150:151], v[92:93], off
	global_load_dwordx2 v[152:153], v[94:95], off offset:1024
	ds_read2st64_b64 v[90:93], v76 offset1:6
	ds_read2st64_b64 v[94:97], v76 offset0:24 offset1:30
	ds_read2st64_b64 v[98:101], v76 offset0:48 offset1:54
	;; [unrolled: 1-line block ×7, first 2 shown]
	s_waitcnt vmcnt(15) lgkmcnt(7)
	v_mul_f32_e32 v154, v91, v123
	v_mul_f32_e32 v155, v90, v123
	v_fma_f32 v154, v90, v122, -v154
	v_fmac_f32_e32 v155, v91, v122
	s_waitcnt vmcnt(14)
	v_mul_f32_e32 v90, v93, v125
	v_mul_f32_e32 v91, v92, v125
	v_fma_f32 v90, v92, v124, -v90
	v_fmac_f32_e32 v91, v93, v124
	s_waitcnt vmcnt(7) lgkmcnt(2)
	v_mul_f32_e32 v125, v110, v139
	v_mul_f32_e32 v156, v95, v133
	;; [unrolled: 1-line block ×7, first 2 shown]
	v_fma_f32 v122, v94, v132, -v156
	v_fmac_f32_e32 v123, v95, v132
	v_fma_f32 v132, v98, v134, -v157
	v_fmac_f32_e32 v133, v99, v134
	v_mul_f32_e32 v95, v107, v127
	v_mul_f32_e32 v94, v106, v127
	;; [unrolled: 1-line block ×4, first 2 shown]
	v_fma_f32 v134, v102, v136, -v158
	v_fmac_f32_e32 v135, v103, v136
	v_mul_f32_e32 v102, v97, v131
	v_mul_f32_e32 v103, v96, v131
	;; [unrolled: 1-line block ×3, first 2 shown]
	s_waitcnt vmcnt(6)
	v_mul_f32_e32 v156, v113, v141
	v_mul_f32_e32 v127, v112, v141
	s_waitcnt vmcnt(5)
	v_mul_f32_e32 v157, v101, v143
	v_mul_f32_e32 v129, v100, v143
	s_waitcnt vmcnt(4) lgkmcnt(1)
	v_mul_f32_e32 v158, v115, v145
	v_mul_f32_e32 v131, v114, v145
	s_waitcnt vmcnt(3)
	v_mul_f32_e32 v145, v117, v147
	v_mul_f32_e32 v137, v116, v147
	s_waitcnt vmcnt(2)
	v_mul_f32_e32 v147, v105, v149
	v_mul_f32_e32 v139, v104, v149
	s_waitcnt vmcnt(1) lgkmcnt(0)
	v_mul_f32_e32 v149, v119, v151
	v_mul_f32_e32 v141, v118, v151
	s_waitcnt vmcnt(0)
	v_mul_f32_e32 v151, v121, v153
	v_mul_f32_e32 v143, v120, v153
	v_fma_f32 v93, v106, v126, -v95
	v_fmac_f32_e32 v94, v107, v126
	v_fma_f32 v98, v108, v128, -v98
	v_fmac_f32_e32 v99, v109, v128
	;; [unrolled: 2-line block ×11, first 2 shown]
	ds_write2st64_b64 v76, v[154:155], v[90:91] offset1:6
	ds_write2st64_b64 v76, v[93:94], v[98:99] offset0:12 offset1:18
	ds_write2st64_b64 v76, v[122:123], v[102:103] offset0:24 offset1:30
	ds_write2st64_b64 v76, v[124:125], v[126:127] offset0:36 offset1:42
	ds_write2st64_b64 v76, v[132:133], v[128:129] offset0:48 offset1:54
	ds_write2st64_b64 v76, v[130:131], v[136:137] offset0:60 offset1:66
	ds_write2st64_b64 v76, v[134:135], v[138:139] offset0:72 offset1:78
	ds_write2st64_b64 v76, v[140:141], v[142:143] offset0:84 offset1:90
.LBB0_13:
	s_or_b32 exec_lo, exec_lo, s8
	s_waitcnt lgkmcnt(0)
	s_barrier
	buffer_gl0_inv
	s_and_saveexec_b32 s1, vcc_lo
	s_cbranch_execz .LBB0_15
; %bb.14:
	ds_read2st64_b64 v[49:52], v76 offset1:6
	ds_read2st64_b64 v[41:44], v76 offset0:12 offset1:18
	ds_read2st64_b64 v[53:56], v76 offset0:24 offset1:30
	;; [unrolled: 1-line block ×7, first 2 shown]
.LBB0_15:
	s_or_b32 exec_lo, exec_lo, s1
	s_waitcnt lgkmcnt(3)
	v_sub_f32_e32 v61, v49, v61
	v_sub_f32_e32 v62, v50, v62
	s_waitcnt lgkmcnt(1)
	v_sub_f32_e32 v37, v53, v37
	v_sub_f32_e32 v38, v54, v38
	;; [unrolled: 1-line block ×4, first 2 shown]
	s_waitcnt lgkmcnt(0)
	v_sub_f32_e32 v33, v45, v33
	v_sub_f32_e32 v34, v46, v34
	v_fma_f32 v90, v49, 2.0, -v61
	v_fma_f32 v50, v50, 2.0, -v62
	;; [unrolled: 1-line block ×7, first 2 shown]
	v_sub_f32_e32 v64, v52, v64
	v_fma_f32 v46, v46, 2.0, -v34
	v_sub_f32_e32 v40, v56, v40
	v_sub_f32_e32 v93, v51, v63
	;; [unrolled: 1-line block ×3, first 2 shown]
	v_fma_f32 v63, v52, 2.0, -v64
	v_sub_f32_e32 v59, v43, v59
	v_fma_f32 v56, v56, 2.0, -v40
	v_sub_f32_e32 v42, v90, v49
	v_sub_f32_e32 v49, v50, v53
	v_add_f32_e32 v52, v38, v61
	v_sub_f32_e32 v57, v62, v37
	v_sub_f32_e32 v37, v54, v45
	;; [unrolled: 1-line block ×3, first 2 shown]
	v_fma_f32 v51, v51, 2.0, -v93
	v_fma_f32 v55, v55, 2.0, -v39
	v_sub_f32_e32 v60, v44, v60
	v_sub_f32_e32 v35, v47, v35
	;; [unrolled: 1-line block ×3, first 2 shown]
	v_fma_f32 v94, v43, 2.0, -v59
	v_fma_f32 v43, v50, 2.0, -v49
	;; [unrolled: 1-line block ×4, first 2 shown]
	v_sub_f32_e32 v58, v63, v56
	v_fma_f32 v96, v47, 2.0, -v35
	v_fma_f32 v48, v48, 2.0, -v36
	;; [unrolled: 1-line block ×3, first 2 shown]
	v_sub_f32_e32 v53, v51, v55
	v_add_f32_e32 v62, v40, v93
	v_fma_f32 v46, v63, 2.0, -v58
	v_sub_f32_e32 v63, v64, v39
	v_add_f32_e32 v36, v36, v59
	v_sub_f32_e32 v35, v60, v35
	v_fma_f32 v95, v44, 2.0, -v60
	v_add_f32_e32 v34, v34, v91
	v_sub_f32_e32 v33, v92, v33
	v_fma_f32 v45, v51, 2.0, -v53
	v_fma_f32 v51, v93, 2.0, -v62
	v_sub_f32_e32 v39, v94, v96
	v_fma_f32 v55, v64, 2.0, -v63
	v_fma_f32 v97, v59, 2.0, -v36
	;; [unrolled: 1-line block ×7, first 2 shown]
	v_sub_f32_e32 v98, v95, v48
	v_fmamk_f32 v64, v97, 0xbf3504f3, v51
	v_fmamk_f32 v90, v96, 0xbf3504f3, v55
	v_fma_f32 v94, v94, 2.0, -v39
	v_fmamk_f32 v56, v61, 0xbf3504f3, v44
	v_fma_f32 v95, v95, 2.0, -v98
	v_fmamk_f32 v59, v40, 0xbf3504f3, v47
	v_fmamk_f32 v92, v34, 0x3f3504f3, v52
	;; [unrolled: 1-line block ×3, first 2 shown]
	v_fmac_f32_e32 v64, 0x3f3504f3, v96
	v_fmamk_f32 v96, v36, 0x3f3504f3, v62
	v_fmac_f32_e32 v90, 0xbf3504f3, v97
	v_fmamk_f32 v97, v35, 0x3f3504f3, v63
	v_sub_f32_e32 v48, v41, v50
	v_fmac_f32_e32 v56, 0x3f3504f3, v40
	v_fmac_f32_e32 v59, 0xbf3504f3, v61
	v_add_f32_e32 v50, v38, v42
	v_sub_f32_e32 v91, v49, v37
	v_fmac_f32_e32 v92, 0x3f3504f3, v33
	v_fmac_f32_e32 v93, 0xbf3504f3, v34
	v_sub_f32_e32 v60, v45, v94
	v_sub_f32_e32 v61, v46, v95
	v_add_f32_e32 v94, v98, v53
	v_sub_f32_e32 v95, v58, v39
	v_fmac_f32_e32 v96, 0x3f3504f3, v35
	v_fmac_f32_e32 v97, 0xbf3504f3, v36
	v_sub_f32_e32 v54, v43, v54
	v_fmamk_f32 v35, v64, 0x3ec3ef15, v56
	v_fmamk_f32 v36, v90, 0x3ec3ef15, v59
	v_fmamk_f32 v37, v94, 0x3f3504f3, v50
	v_fmamk_f32 v38, v95, 0x3f3504f3, v91
	v_fmamk_f32 v39, v96, 0x3f6c835e, v92
	v_fmamk_f32 v40, v97, 0x3f6c835e, v93
	v_add_f32_e32 v33, v61, v48
	v_sub_f32_e32 v34, v54, v60
	v_fmac_f32_e32 v35, 0x3f6c835e, v90
	v_fmac_f32_e32 v36, 0xbf6c835e, v64
	;; [unrolled: 1-line block ×6, first 2 shown]
	s_barrier
	buffer_gl0_inv
	s_and_saveexec_b32 s1, vcc_lo
	s_cbranch_execz .LBB0_17
; %bb.16:
	v_fma_f32 v49, v49, 2.0, -v91
	v_fma_f32 v58, v58, 2.0, -v95
	;; [unrolled: 1-line block ×6, first 2 shown]
	v_fmamk_f32 v91, v58, 0xbf3504f3, v49
	v_fma_f32 v63, v63, 2.0, -v97
	v_fma_f32 v52, v52, 2.0, -v92
	;; [unrolled: 1-line block ×4, first 2 shown]
	v_fmac_f32_e32 v91, 0xbf3504f3, v53
	v_fmamk_f32 v93, v63, 0xbec3ef15, v57
	v_fma_f32 v102, v59, 2.0, -v36
	v_fmamk_f32 v92, v62, 0xbec3ef15, v52
	v_fma_f32 v47, v47, 2.0, -v59
	v_fma_f32 v59, v55, 2.0, -v90
	;; [unrolled: 1-line block ×6, first 2 shown]
	v_fmac_f32_e32 v93, 0xbf6c835e, v62
	v_fmac_f32_e32 v92, 0x3f6c835e, v63
	v_fmamk_f32 v63, v59, 0xbf6c835e, v47
	v_fmamk_f32 v62, v51, 0xbf6c835e, v64
	v_fma_f32 v42, v43, 2.0, -v54
	v_fma_f32 v43, v46, 2.0, -v61
	;; [unrolled: 1-line block ×4, first 2 shown]
	v_fmamk_f32 v90, v53, 0xbf3504f3, v49
	v_fmac_f32_e32 v63, 0xbec3ef15, v51
	v_fmac_f32_e32 v62, 0x3ec3ef15, v59
	v_sub_f32_e32 v61, v42, v43
	v_sub_f32_e32 v60, v41, v44
	v_fmac_f32_e32 v90, 0x3f3504f3, v58
	v_fma_f32 v44, v47, 2.0, -v63
	v_fma_f32 v43, v64, 2.0, -v62
	;; [unrolled: 1-line block ×4, first 2 shown]
	v_lshlrev_b32_e32 v45, 3, v89
	v_fma_f32 v101, v56, 2.0, -v35
	v_fma_f32 v100, v54, 2.0, -v34
	;; [unrolled: 1-line block ×7, first 2 shown]
	ds_write_b128 v45, v[41:44]
	ds_write_b128 v45, v[54:57] offset:16
	ds_write_b128 v45, v[99:102] offset:32
	;; [unrolled: 1-line block ×7, first 2 shown]
.LBB0_17:
	s_or_b32 exec_lo, exec_lo, s1
	s_waitcnt lgkmcnt(0)
	s_barrier
	buffer_gl0_inv
	ds_read2st64_b64 v[41:44], v76 offset0:16 offset1:24
	ds_read2st64_b64 v[45:48], v76 offset0:32 offset1:48
	;; [unrolled: 1-line block ×3, first 2 shown]
	ds_read_b64 v[57:58], v77
	ds_read_b64 v[59:60], v76 offset:40960
	ds_read2st64_b64 v[53:56], v76 offset1:8
	ds_read_b64 v[61:62], v79
	ds_read_b64 v[63:64], v78
	s_waitcnt lgkmcnt(0)
	s_barrier
	buffer_gl0_inv
	v_mul_f32_e32 v89, v14, v44
	v_mul_f32_e32 v90, v14, v43
	;; [unrolled: 1-line block ×6, first 2 shown]
	v_fmac_f32_e32 v89, v13, v43
	v_fma_f32 v43, v13, v44, -v90
	v_fma_f32 v44, v15, v48, -v92
	v_mul_f32_e32 v48, v16, v57
	v_mul_f32_e32 v93, v69, v52
	;; [unrolled: 1-line block ×4, first 2 shown]
	v_fmac_f32_e32 v91, v15, v47
	v_fma_f32 v47, v68, v52, -v94
	v_fmac_f32_e32 v97, v15, v57
	v_fma_f32 v48, v15, v58, -v48
	v_mul_f32_e32 v58, v14, v62
	v_mul_f32_e32 v14, v14, v61
	;; [unrolled: 1-line block ×4, first 2 shown]
	v_fmac_f32_e32 v93, v68, v51
	v_mul_f32_e32 v51, v69, v60
	v_fmac_f32_e32 v95, v13, v45
	v_fma_f32 v52, v13, v46, -v96
	v_fmac_f32_e32 v58, v13, v61
	v_fma_f32 v13, v13, v62, -v14
	;; [unrolled: 2-line block ×3, first 2 shown]
	v_sub_f32_e32 v15, v53, v91
	v_sub_f32_e32 v44, v54, v44
	;; [unrolled: 1-line block ×3, first 2 shown]
	v_fmac_f32_e32 v51, v68, v59
	v_mul_f32_e32 v45, v69, v59
	v_fma_f32 v47, v53, 2.0, -v15
	v_mul_f32_e32 v46, v69, v63
	v_fma_f32 v53, v54, 2.0, -v44
	v_fma_f32 v43, v43, 2.0, -v49
	v_fma_f32 v59, v68, v60, -v45
	v_sub_f32_e32 v16, v89, v93
	v_mul_f32_e32 v60, v69, v64
	v_fma_f32 v61, v68, v64, -v46
	v_sub_f32_e32 v62, v55, v97
	v_sub_f32_e32 v46, v53, v43
	v_sub_f32_e32 v43, v95, v51
	v_fmac_f32_e32 v60, v68, v63
	v_sub_f32_e32 v63, v56, v48
	v_fma_f32 v55, v55, 2.0, -v62
	v_add_f32_e32 v49, v15, v49
	v_fma_f32 v48, v95, 2.0, -v43
	v_sub_f32_e32 v50, v44, v16
	v_sub_f32_e32 v59, v52, v59
	;; [unrolled: 1-line block ×5, first 2 shown]
	v_fma_f32 v48, v53, 2.0, -v46
	v_fma_f32 v53, v15, 2.0, -v49
	;; [unrolled: 1-line block ×3, first 2 shown]
	v_sub_f32_e32 v15, v41, v57
	v_sub_f32_e32 v44, v13, v61
	v_fma_f32 v45, v89, 2.0, -v16
	v_fma_f32 v16, v56, 2.0, -v63
	;; [unrolled: 1-line block ×7, first 2 shown]
	v_sub_f32_e32 v45, v47, v45
	v_sub_f32_e32 v52, v16, v52
	v_add_f32_e32 v57, v62, v59
	v_sub_f32_e32 v58, v63, v43
	v_sub_f32_e32 v41, v61, v41
	;; [unrolled: 1-line block ×3, first 2 shown]
	v_add_f32_e32 v43, v15, v44
	v_sub_f32_e32 v44, v64, v14
	v_fma_f32 v47, v47, 2.0, -v45
	v_fma_f32 v55, v55, 2.0, -v51
	;; [unrolled: 1-line block ×9, first 2 shown]
	ds_write2_b64 v84, v[47:48], v[53:54] offset1:16
	ds_write2_b64 v84, v[45:46], v[49:50] offset0:32 offset1:48
	ds_write2_b64 v83, v[55:56], v[59:60] offset1:16
	ds_write2_b64 v83, v[51:52], v[57:58] offset0:32 offset1:48
	ds_write2_b64 v82, v[13:14], v[15:16] offset1:16
	ds_write2_b64 v82, v[41:42], v[43:44] offset0:32 offset1:48
	s_waitcnt lgkmcnt(0)
	s_barrier
	buffer_gl0_inv
	ds_read2st64_b64 v[45:48], v76 offset1:12
	ds_read2st64_b64 v[57:60], v76 offset0:24 offset1:36
	ds_read2st64_b64 v[53:56], v76 offset0:48 offset1:60
	;; [unrolled: 1-line block ×3, first 2 shown]
	s_and_saveexec_b32 s1, s0
	s_cbranch_execz .LBB0_19
; %bb.18:
	ds_read2st64_b64 v[35:38], v76 offset0:68 offset1:80
	ds_read2st64_b64 v[13:16], v76 offset0:8 offset1:20
	;; [unrolled: 1-line block ×3, first 2 shown]
	ds_read_b64 v[33:34], v77
	ds_read_b64 v[39:40], v76 offset:47104
.LBB0_19:
	s_or_b32 exec_lo, exec_lo, s1
	s_waitcnt lgkmcnt(2)
	v_mul_f32_e32 v63, v8, v58
	v_mul_f32_e32 v61, v6, v48
	;; [unrolled: 1-line block ×5, first 2 shown]
	v_fmac_f32_e32 v63, v7, v57
	v_mul_f32_e32 v57, v2, v59
	v_fmac_f32_e32 v61, v5, v47
	v_fma_f32 v47, v5, v48, -v62
	s_waitcnt lgkmcnt(1)
	v_mul_f32_e32 v62, v10, v56
	v_fma_f32 v48, v7, v58, -v64
	v_fma_f32 v57, v1, v60, -v57
	v_mul_f32_e32 v60, v10, v55
	v_fmac_f32_e32 v68, v1, v59
	v_mul_f32_e32 v58, v4, v54
	v_mul_f32_e32 v59, v4, v53
	v_fmac_f32_e32 v62, v9, v55
	v_fma_f32 v55, v9, v56, -v60
	s_waitcnt lgkmcnt(0)
	v_mul_f32_e32 v56, v12, v49
	v_fmac_f32_e32 v58, v3, v53
	v_fma_f32 v53, v3, v54, -v59
	v_mul_f32_e32 v54, v12, v50
	v_mul_f32_e32 v59, v67, v52
	;; [unrolled: 1-line block ×3, first 2 shown]
	v_fma_f32 v50, v11, v50, -v56
	v_sub_f32_e32 v55, v47, v55
	v_fmac_f32_e32 v54, v11, v49
	v_fmac_f32_e32 v59, v66, v51
	v_fma_f32 v51, v66, v52, -v60
	v_sub_f32_e32 v52, v46, v53
	v_sub_f32_e32 v50, v48, v50
	;; [unrolled: 1-line block ×5, first 2 shown]
	v_fma_f32 v46, v46, 2.0, -v52
	v_fma_f32 v48, v48, 2.0, -v50
	v_sub_f32_e32 v59, v68, v59
	v_sub_f32_e32 v51, v57, v51
	v_fma_f32 v45, v45, 2.0, -v49
	v_fma_f32 v56, v63, 2.0, -v53
	;; [unrolled: 1-line block ×4, first 2 shown]
	v_sub_f32_e32 v61, v46, v48
	v_fma_f32 v48, v68, 2.0, -v59
	v_add_f32_e32 v62, v49, v50
	v_fma_f32 v50, v57, 2.0, -v51
	v_sub_f32_e32 v63, v52, v53
	v_sub_f32_e32 v59, v55, v59
	v_add_f32_e32 v68, v54, v51
	v_sub_f32_e32 v60, v45, v56
	v_sub_f32_e32 v64, v58, v48
	;; [unrolled: 1-line block ×3, first 2 shown]
	v_fma_f32 v82, v52, 2.0, -v63
	v_fma_f32 v50, v55, 2.0, -v59
	;; [unrolled: 1-line block ×6, first 2 shown]
	v_fmamk_f32 v48, v50, 0xbf3504f3, v82
	v_fma_f32 v57, v46, 2.0, -v61
	v_fma_f32 v46, v47, 2.0, -v69
	v_fmamk_f32 v47, v51, 0xbf3504f3, v53
	v_sub_f32_e32 v45, v56, v45
	v_fmac_f32_e32 v48, 0xbf3504f3, v51
	v_fmamk_f32 v51, v68, 0x3f3504f3, v62
	v_fmamk_f32 v52, v59, 0x3f3504f3, v63
	v_sub_f32_e32 v46, v57, v46
	v_fmac_f32_e32 v47, 0x3f3504f3, v50
	v_fma_f32 v49, v56, 2.0, -v45
	v_add_f32_e32 v55, v60, v69
	v_sub_f32_e32 v56, v61, v64
	v_fmac_f32_e32 v51, 0x3f3504f3, v59
	v_fmac_f32_e32 v52, 0xbf3504f3, v68
	v_fma_f32 v50, v57, 2.0, -v46
	v_fma_f32 v53, v53, 2.0, -v47
	;; [unrolled: 1-line block ×7, first 2 shown]
	s_barrier
	buffer_gl0_inv
	ds_write2st64_b64 v88, v[49:50], v[53:54] offset1:1
	ds_write2st64_b64 v88, v[57:58], v[59:60] offset0:2 offset1:3
	ds_write2st64_b64 v88, v[45:46], v[47:48] offset0:4 offset1:5
	;; [unrolled: 1-line block ×3, first 2 shown]
	s_and_saveexec_b32 s1, s0
	s_cbranch_execz .LBB0_21
; %bb.20:
	v_mul_f32_e32 v50, v2, v44
	v_mul_f32_e32 v51, v67, v40
	;; [unrolled: 1-line block ×9, first 2 shown]
	v_fmac_f32_e32 v51, v66, v39
	v_fma_f32 v39, v1, v44, -v2
	v_mul_f32_e32 v6, v6, v16
	v_mul_f32_e32 v2, v10, v36
	;; [unrolled: 1-line block ×5, first 2 shown]
	v_fma_f32 v45, v3, v34, -v45
	v_fmac_f32_e32 v46, v7, v41
	v_fmac_f32_e32 v47, v11, v37
	v_fma_f32 v48, v5, v16, -v48
	v_fma_f32 v49, v9, v36, -v49
	v_fmac_f32_e32 v50, v1, v43
	v_fma_f32 v1, v66, v40, -v52
	v_fmac_f32_e32 v6, v5, v15
	v_fmac_f32_e32 v2, v9, v35
	v_fma_f32 v5, v7, v42, -v8
	v_fma_f32 v7, v11, v38, -v10
	v_fmac_f32_e32 v4, v3, v33
	v_sub_f32_e32 v45, v14, v45
	v_sub_f32_e32 v47, v46, v47
	;; [unrolled: 1-line block ×10, first 2 shown]
	v_add_f32_e32 v15, v8, v9
	v_fma_f32 v14, v14, 2.0, -v45
	v_add_f32_e32 v16, v7, v10
	v_fma_f32 v4, v5, 2.0, -v7
	v_fmamk_f32 v2, v12, 0x3f3504f3, v11
	v_fma_f32 v5, v6, 2.0, -v9
	v_fma_f32 v3, v50, 2.0, -v3
	v_fmamk_f32 v1, v15, 0x3f3504f3, v16
	v_sub_f32_e32 v7, v14, v4
	v_fmac_f32_e32 v2, 0xbf3504f3, v15
	v_fma_f32 v13, v13, 2.0, -v10
	v_sub_f32_e32 v33, v5, v3
	v_fmac_f32_e32 v1, 0x3f3504f3, v12
	v_fma_f32 v34, v46, 2.0, -v47
	v_fma_f32 v35, v48, 2.0, -v49
	v_fma_f32 v36, v39, 2.0, -v8
	v_fma_f32 v4, v11, 2.0, -v2
	v_fma_f32 v3, v16, 2.0, -v1
	v_sub_f32_e32 v6, v7, v33
	v_fma_f32 v37, v45, 2.0, -v11
	v_fma_f32 v11, v49, 2.0, -v12
	;; [unrolled: 1-line block ×4, first 2 shown]
	v_sub_f32_e32 v16, v35, v36
	v_sub_f32_e32 v34, v13, v34
	v_fma_f32 v8, v7, 2.0, -v6
	v_fmamk_f32 v10, v11, 0xbf3504f3, v37
	v_fmamk_f32 v9, v12, 0xbf3504f3, v15
	v_fma_f32 v7, v14, 2.0, -v7
	v_fma_f32 v14, v35, 2.0, -v16
	;; [unrolled: 1-line block ×4, first 2 shown]
	v_fmac_f32_e32 v10, 0xbf3504f3, v12
	v_fmac_f32_e32 v9, 0x3f3504f3, v11
	v_sub_f32_e32 v12, v7, v14
	v_and_or_b32 v33, 0x1e00, v85, v81
	v_sub_f32_e32 v11, v35, v13
	v_add_f32_e32 v5, v34, v16
	v_fma_f32 v14, v37, 2.0, -v10
	v_fma_f32 v13, v15, 2.0, -v9
	;; [unrolled: 1-line block ×4, first 2 shown]
	v_lshlrev_b32_e32 v33, 3, v33
	v_fma_f32 v7, v34, 2.0, -v5
	ds_write2st64_b64 v33, v[15:16], v[13:14] offset1:1
	ds_write2st64_b64 v33, v[7:8], v[3:4] offset0:2 offset1:3
	ds_write2st64_b64 v33, v[11:12], v[9:10] offset0:4 offset1:5
	;; [unrolled: 1-line block ×3, first 2 shown]
.LBB0_21:
	s_or_b32 exec_lo, exec_lo, s1
	s_waitcnt lgkmcnt(0)
	s_barrier
	buffer_gl0_inv
	ds_read2st64_b64 v[1:4], v76 offset0:32 offset1:48
	ds_read2st64_b64 v[5:8], v76 offset0:64 offset1:72
	ds_read_b64 v[33:34], v79
	ds_read2st64_b64 v[9:12], v76 offset1:8
	ds_read2st64_b64 v[13:16], v76 offset0:16 offset1:24
	ds_read_b64 v[35:36], v76 offset:40960
	ds_read_b64 v[37:38], v78
	ds_read_b64 v[39:40], v77
	s_waitcnt lgkmcnt(0)
	s_barrier
	buffer_gl0_inv
	v_mul_f32_e32 v41, v18, v2
	v_mul_f32_e32 v42, v18, v1
	;; [unrolled: 1-line block ×7, first 2 shown]
	v_fmac_f32_e32 v41, v17, v1
	v_mul_f32_e32 v1, v18, v3
	v_fma_f32 v2, v17, v2, -v42
	v_fmac_f32_e32 v43, v19, v5
	v_fma_f32 v6, v19, v6, -v44
	v_fmac_f32_e32 v45, v17, v33
	v_fma_f32 v33, v17, v34, -v46
	v_mul_f32_e32 v34, v20, v36
	v_fmac_f32_e32 v49, v17, v3
	v_mul_f32_e32 v3, v20, v35
	v_fma_f32 v42, v17, v4, -v1
	v_mul_f32_e32 v1, v18, v39
	v_mul_f32_e32 v47, v20, v8
	;; [unrolled: 1-line block ×4, first 2 shown]
	v_fmac_f32_e32 v34, v19, v35
	v_fma_f32 v18, v19, v36, -v3
	v_mul_f32_e32 v35, v20, v38
	v_mul_f32_e32 v3, v20, v37
	v_fma_f32 v36, v17, v40, -v1
	v_add_f32_e32 v1, v41, v43
	v_add_f32_e32 v4, v9, v41
	v_add_f32_e32 v5, v2, v6
	v_fmac_f32_e32 v47, v19, v7
	v_fma_f32 v8, v19, v8, -v48
	v_fmac_f32_e32 v35, v19, v37
	v_fma_f32 v37, v19, v38, -v3
	v_fma_f32 v1, -0.5, v1, v9
	v_sub_f32_e32 v7, v2, v6
	v_add_f32_e32 v3, v4, v43
	v_add_f32_e32 v4, v10, v2
	v_fma_f32 v2, -0.5, v5, v10
	v_sub_f32_e32 v9, v41, v43
	v_fmamk_f32 v5, v7, 0xbf5db3d7, v1
	v_fmac_f32_e32 v1, 0x3f5db3d7, v7
	v_add_f32_e32 v4, v4, v6
	v_add_f32_e32 v7, v45, v47
	v_fmamk_f32 v6, v9, 0x3f5db3d7, v2
	v_add_f32_e32 v10, v11, v45
	v_fmac_f32_e32 v2, 0xbf5db3d7, v9
	v_add_f32_e32 v9, v33, v8
	v_fmac_f32_e32 v44, v17, v39
	v_fma_f32 v11, -0.5, v7, v11
	v_sub_f32_e32 v17, v33, v8
	v_add_f32_e32 v7, v10, v47
	v_add_f32_e32 v10, v12, v33
	v_fmac_f32_e32 v12, -0.5, v9
	v_sub_f32_e32 v19, v45, v47
	v_fmamk_f32 v9, v17, 0xbf5db3d7, v11
	v_fmac_f32_e32 v11, 0x3f5db3d7, v17
	v_add_f32_e32 v8, v10, v8
	v_add_f32_e32 v17, v49, v34
	v_fmamk_f32 v10, v19, 0x3f5db3d7, v12
	v_add_f32_e32 v20, v13, v49
	v_fmac_f32_e32 v12, 0xbf5db3d7, v19
	v_add_f32_e32 v19, v42, v18
	v_fma_f32 v13, -0.5, v17, v13
	v_sub_f32_e32 v33, v42, v18
	v_add_f32_e32 v17, v20, v34
	v_add_f32_e32 v20, v14, v42
	v_fma_f32 v14, -0.5, v19, v14
	v_sub_f32_e32 v34, v49, v34
	v_fmamk_f32 v19, v33, 0xbf5db3d7, v13
	v_fmac_f32_e32 v13, 0x3f5db3d7, v33
	v_add_f32_e32 v18, v20, v18
	v_add_f32_e32 v33, v44, v35
	v_fmamk_f32 v20, v34, 0x3f5db3d7, v14
	v_fmac_f32_e32 v14, 0xbf5db3d7, v34
	v_add_f32_e32 v34, v36, v37
	v_add_f32_e32 v38, v15, v44
	v_fma_f32 v15, -0.5, v33, v15
	v_sub_f32_e32 v39, v36, v37
	v_add_f32_e32 v36, v16, v36
	v_fmac_f32_e32 v16, -0.5, v34
	v_sub_f32_e32 v40, v44, v35
	v_add_f32_e32 v33, v38, v35
	v_fmamk_f32 v35, v39, 0xbf5db3d7, v15
	v_fmac_f32_e32 v15, 0x3f5db3d7, v39
	v_add_f32_e32 v34, v36, v37
	v_fmamk_f32 v36, v40, 0x3f5db3d7, v16
	v_fmac_f32_e32 v16, 0xbf5db3d7, v40
	ds_write2st64_b64 v76, v[3:4], v[5:6] offset1:8
	ds_write2st64_b64 v76, v[1:2], v[7:8] offset0:16 offset1:24
	ds_write_b64 v79, v[11:12]
	ds_write2st64_b64 v76, v[9:10], v[17:18] offset0:32 offset1:48
	ds_write_b64 v77, v[19:20]
	ds_write2st64_b64 v76, v[13:14], v[33:34] offset0:64 offset1:72
	ds_write_b64 v76, v[35:36] offset:40960
	ds_write_b64 v78, v[15:16]
	s_waitcnt lgkmcnt(0)
	s_barrier
	buffer_gl0_inv
	ds_read2st64_b64 v[1:4], v76 offset0:16 offset1:24
	ds_read2st64_b64 v[5:8], v76 offset0:32 offset1:48
	;; [unrolled: 1-line block ×3, first 2 shown]
	ds_read_b64 v[17:18], v77
	ds_read_b64 v[19:20], v76 offset:40960
	ds_read2st64_b64 v[13:16], v76 offset1:8
	ds_read_b64 v[33:34], v79
	ds_read_b64 v[35:36], v78
	s_waitcnt lgkmcnt(7)
	v_mul_f32_e32 v37, v26, v4
	s_waitcnt lgkmcnt(5)
	v_mul_f32_e32 v38, v75, v12
	v_mul_f32_e32 v39, v75, v11
	v_fmac_f32_e32 v37, v25, v3
	v_mul_f32_e32 v3, v26, v3
	v_mul_f32_e32 v26, v28, v8
	;; [unrolled: 1-line block ×3, first 2 shown]
	v_fmac_f32_e32 v38, v74, v11
	v_mul_f32_e32 v11, v30, v5
	v_fma_f32 v3, v25, v4, -v3
	v_fmac_f32_e32 v26, v27, v7
	v_fma_f32 v4, v27, v8, -v28
	v_fma_f32 v7, v74, v12, -v39
	v_mul_f32_e32 v8, v30, v6
	s_waitcnt lgkmcnt(4)
	v_mul_f32_e32 v12, v32, v18
	v_mul_f32_e32 v25, v32, v17
	s_waitcnt lgkmcnt(3)
	v_mul_f32_e32 v27, v73, v20
	v_fma_f32 v6, v29, v6, -v11
	v_fmac_f32_e32 v8, v29, v5
	v_fmac_f32_e32 v12, v31, v17
	v_fma_f32 v11, v31, v18, -v25
	v_fmac_f32_e32 v27, v72, v19
	v_mul_f32_e32 v5, v73, v19
	s_waitcnt lgkmcnt(1)
	v_mul_f32_e32 v17, v22, v34
	v_mul_f32_e32 v18, v22, v33
	;; [unrolled: 1-line block ×4, first 2 shown]
	v_sub_f32_e32 v7, v3, v7
	v_fmac_f32_e32 v17, v21, v33
	v_fma_f32 v18, v21, v34, -v18
	v_fmac_f32_e32 v19, v23, v9
	v_fma_f32 v21, v23, v10, -v22
	v_sub_f32_e32 v10, v13, v26
	v_sub_f32_e32 v9, v37, v38
	v_sub_f32_e32 v23, v14, v4
	v_fma_f32 v20, v72, v20, -v5
	v_fma_f32 v24, v3, 2.0, -v7
	v_fma_f32 v5, v13, 2.0, -v10
	;; [unrolled: 1-line block ×3, first 2 shown]
	s_waitcnt lgkmcnt(0)
	v_mul_f32_e32 v13, v71, v35
	v_fma_f32 v14, v14, 2.0, -v23
	v_sub_f32_e32 v26, v15, v12
	v_mul_f32_e32 v22, v71, v36
	v_sub_f32_e32 v3, v5, v4
	v_fma_f32 v25, v70, v36, -v13
	v_sub_f32_e32 v4, v14, v24
	v_sub_f32_e32 v24, v8, v27
	;; [unrolled: 1-line block ×3, first 2 shown]
	v_fma_f32 v13, v15, 2.0, -v26
	v_sub_f32_e32 v15, v6, v20
	v_fmac_f32_e32 v22, v70, v35
	v_fma_f32 v11, v8, 2.0, -v24
	v_add_f32_e32 v7, v10, v7
	v_sub_f32_e32 v8, v23, v9
	v_fma_f32 v16, v16, 2.0, -v27
	v_fma_f32 v20, v6, 2.0, -v15
	v_sub_f32_e32 v9, v13, v11
	v_fma_f32 v11, v10, 2.0, -v7
	v_fma_f32 v12, v23, 2.0, -v8
	v_sub_f32_e32 v23, v1, v19
	v_sub_f32_e32 v10, v16, v20
	;; [unrolled: 1-line block ×5, first 2 shown]
	v_fma_f32 v21, v1, 2.0, -v23
	v_fma_f32 v6, v14, 2.0, -v4
	;; [unrolled: 1-line block ×5, first 2 shown]
	v_add_f32_e32 v15, v26, v15
	v_fma_f32 v14, v16, 2.0, -v10
	v_sub_f32_e32 v16, v27, v24
	v_sub_f32_e32 v17, v21, v2
	;; [unrolled: 1-line block ×3, first 2 shown]
	v_fma_f32 v5, v5, 2.0, -v3
	v_fma_f32 v13, v13, 2.0, -v9
	v_add_f32_e32 v19, v23, v19
	v_sub_f32_e32 v20, v28, v20
	v_fma_f32 v1, v26, 2.0, -v15
	v_fma_f32 v2, v27, 2.0, -v16
	;; [unrolled: 1-line block ×6, first 2 shown]
	ds_write2st64_b64 v76, v[5:6], v[13:14] offset1:8
	ds_write2st64_b64 v76, v[1:2], v[3:4] offset0:32 offset1:48
	ds_write_b64 v77, v[9:10]
	ds_write_b64 v76, v[15:16] offset:40960
	ds_write2st64_b64 v76, v[21:22], v[11:12] offset0:16 offset1:24
	ds_write_b64 v79, v[23:24]
	ds_write2st64_b64 v76, v[17:18], v[7:8] offset0:64 offset1:72
	ds_write_b64 v78, v[19:20]
	s_waitcnt lgkmcnt(0)
	s_barrier
	buffer_gl0_inv
	s_and_b32 exec_lo, exec_lo, vcc_lo
	s_cbranch_execz .LBB0_23
; %bb.22:
	v_add_co_u32 v1, s0, s12, v76
	v_add_co_ci_u32_e64 v2, null, s13, 0, s0
	s_clause 0x1
	global_load_dwordx2 v[27:28], v76, s[12:13]
	global_load_dwordx2 v[31:32], v86, s[12:13]
	v_add_co_u32 v3, vcc_lo, 0x800, v1
	v_add_co_ci_u32_e32 v4, vcc_lo, 0, v2, vcc_lo
	v_add_co_u32 v5, vcc_lo, 0x1800, v1
	v_add_co_ci_u32_e32 v6, vcc_lo, 0, v2, vcc_lo
	v_add_co_u32 v7, vcc_lo, 0x2000, v1
	v_add_co_ci_u32_e32 v8, vcc_lo, 0, v2, vcc_lo
	v_add_co_u32 v9, vcc_lo, 0x3800, v1
	v_add_co_ci_u32_e32 v10, vcc_lo, 0, v2, vcc_lo
	v_add_co_u32 v11, vcc_lo, 0x4800, v1
	v_add_co_ci_u32_e32 v12, vcc_lo, 0, v2, vcc_lo
	global_load_dwordx2 v[29:30], v87, s[12:13]
	v_add_co_u32 v13, vcc_lo, 0x5000, v1
	v_add_co_ci_u32_e32 v14, vcc_lo, 0, v2, vcc_lo
	s_clause 0x5
	global_load_dwordx2 v[33:34], v[3:4], off offset:1024
	global_load_dwordx2 v[35:36], v[5:6], off
	global_load_dwordx2 v[37:38], v[7:8], off offset:1024
	global_load_dwordx2 v[39:40], v[9:10], off offset:1024
	global_load_dwordx2 v[41:42], v[11:12], off
	global_load_dwordx2 v[43:44], v[13:14], off offset:1024
	v_add_co_u32 v3, vcc_lo, 0x6800, v1
	v_add_co_ci_u32_e32 v4, vcc_lo, 0, v2, vcc_lo
	v_add_co_u32 v5, vcc_lo, 0x7800, v1
	v_add_co_ci_u32_e32 v6, vcc_lo, 0, v2, vcc_lo
	;; [unrolled: 2-line block ×3, first 2 shown]
	s_clause 0x2
	global_load_dwordx2 v[45:46], v[3:4], off offset:1024
	global_load_dwordx2 v[47:48], v[5:6], off
	global_load_dwordx2 v[49:50], v[7:8], off offset:1024
	v_mad_u64_u32 v[3:4], null, s6, v65, 0
	v_mad_u64_u32 v[5:6], null, s4, v0, 0
	ds_read2st64_b64 v[11:14], v76 offset0:48 offset1:54
	ds_read2st64_b64 v[15:18], v76 offset0:12 offset1:18
	;; [unrolled: 1-line block ×4, first 2 shown]
	s_mul_i32 s0, s5, 0xc00
	s_mul_hi_u32 s3, s4, 0xc00
	v_mad_u64_u32 v[7:8], null, s7, v65, v[4:5]
	s_mul_i32 s2, s4, 0xc00
	s_add_i32 s3, s3, s0
	s_mov_b32 s0, 0x55555555
	s_mov_b32 s1, 0x3f255555
	v_mad_u64_u32 v[8:9], null, s5, v0, v[6:7]
	v_mov_b32_e32 v4, v7
	v_lshlrev_b64 v[3:4], 3, v[3:4]
	v_mov_b32_e32 v6, v8
	ds_read2st64_b64 v[7:10], v76 offset0:24 offset1:30
	v_lshlrev_b64 v[5:6], 3, v[5:6]
	v_add_co_u32 v0, vcc_lo, s14, v3
	v_add_co_ci_u32_e32 v3, vcc_lo, s15, v4, vcc_lo
	v_add_co_u32 v51, vcc_lo, v0, v5
	v_add_co_ci_u32_e32 v52, vcc_lo, v3, v6, vcc_lo
	ds_read2st64_b64 v[3:6], v76 offset1:6
	v_add_co_u32 v53, vcc_lo, v51, s2
	v_add_co_ci_u32_e32 v54, vcc_lo, s3, v52, vcc_lo
	v_add_co_u32 v55, vcc_lo, v53, s2
	v_add_co_ci_u32_e32 v56, vcc_lo, s3, v54, vcc_lo
	;; [unrolled: 2-line block ×9, first 2 shown]
	s_waitcnt vmcnt(11) lgkmcnt(0)
	v_mul_f32_e32 v0, v4, v28
	v_mul_f32_e32 v28, v3, v28
	s_waitcnt vmcnt(10)
	v_mul_f32_e32 v72, v12, v32
	v_mul_f32_e32 v32, v11, v32
	v_fmac_f32_e32 v0, v3, v27
	v_fma_f32 v27, v27, v4, -v28
	v_fmac_f32_e32 v72, v11, v31
	v_fma_f32 v31, v31, v12, -v32
	v_cvt_f64_f32_e32 v[3:4], v0
	v_cvt_f64_f32_e32 v[31:32], v31
	s_waitcnt vmcnt(9)
	v_mul_f32_e32 v71, v8, v30
	s_waitcnt vmcnt(8)
	v_mul_f32_e32 v0, v6, v34
	v_mul_f32_e32 v34, v5, v34
	;; [unrolled: 1-line block ×3, first 2 shown]
	s_waitcnt vmcnt(7)
	v_mul_f32_e32 v73, v16, v36
	v_fmac_f32_e32 v71, v7, v29
	v_mul_f32_e32 v36, v15, v36
	s_waitcnt vmcnt(6)
	v_mul_f32_e32 v74, v18, v38
	v_mul_f32_e32 v38, v17, v38
	s_waitcnt vmcnt(4)
	v_mul_f32_e32 v75, v20, v42
	v_cvt_f64_f32_e32 v[11:12], v71
	v_mul_f32_e32 v71, v10, v40
	v_mul_f32_e32 v40, v9, v40
	;; [unrolled: 1-line block ×3, first 2 shown]
	v_fmac_f32_e32 v0, v5, v33
	v_fma_f32 v33, v33, v6, -v34
	v_fma_f32 v28, v29, v8, -v30
	s_waitcnt vmcnt(3)
	v_mul_f32_e32 v77, v22, v44
	v_mul_f32_e32 v44, v21, v44
	v_cvt_f64_f32_e32 v[29:30], v72
	s_waitcnt vmcnt(2)
	v_mul_f32_e32 v72, v14, v46
	v_mul_f32_e32 v46, v13, v46
	v_fmac_f32_e32 v73, v15, v35
	v_fma_f32 v15, v35, v16, -v36
	v_fmac_f32_e32 v74, v17, v37
	v_fma_f32 v34, v37, v18, -v38
	v_cvt_f64_f32_e32 v[7:8], v27
	s_waitcnt vmcnt(1)
	v_mul_f32_e32 v78, v24, v48
	v_mul_f32_e32 v48, v23, v48
	v_fmac_f32_e32 v71, v9, v39
	v_fma_f32 v35, v39, v10, -v40
	s_waitcnt vmcnt(0)
	v_mul_f32_e32 v79, v26, v50
	v_mul_f32_e32 v50, v25, v50
	v_fmac_f32_e32 v75, v19, v41
	v_fma_f32 v36, v41, v20, -v42
	v_cvt_f64_f32_e32 v[5:6], v0
	v_cvt_f64_f32_e32 v[9:10], v33
	v_fmac_f32_e32 v77, v21, v43
	v_fma_f32 v37, v43, v22, -v44
	v_fmac_f32_e32 v72, v13, v45
	v_fma_f32 v41, v45, v14, -v46
	v_cvt_f64_f32_e32 v[13:14], v73
	v_cvt_f64_f32_e32 v[15:16], v15
	;; [unrolled: 1-line block ×5, first 2 shown]
	v_fmac_f32_e32 v78, v23, v47
	v_fma_f32 v45, v47, v24, -v48
	v_cvt_f64_f32_e32 v[21:22], v71
	v_cvt_f64_f32_e32 v[23:24], v35
	v_fmac_f32_e32 v79, v25, v49
	v_fma_f32 v49, v49, v26, -v50
	v_cvt_f64_f32_e32 v[25:26], v75
	v_cvt_f64_f32_e32 v[33:34], v36
	;; [unrolled: 1-line block ×10, first 2 shown]
	v_mul_f64 v[3:4], v[3:4], s[0:1]
	v_mul_f64 v[7:8], v[7:8], s[0:1]
	;; [unrolled: 1-line block ×24, first 2 shown]
	v_cvt_f32_f64_e32 v3, v[3:4]
	v_cvt_f32_f64_e32 v4, v[7:8]
	;; [unrolled: 1-line block ×24, first 2 shown]
	v_add_co_u32 v27, vcc_lo, v69, s2
	v_add_co_ci_u32_e32 v28, vcc_lo, s3, v70, vcc_lo
	v_add_co_u32 v29, vcc_lo, v27, s2
	v_add_co_ci_u32_e32 v30, vcc_lo, s3, v28, vcc_lo
	global_store_dwordx2 v[51:52], v[3:4], off
	global_store_dwordx2 v[53:54], v[5:6], off
	;; [unrolled: 1-line block ×12, first 2 shown]
	global_load_dwordx2 v[7:8], v80, s[12:13]
	ds_read2st64_b64 v[3:6], v76 offset0:72 offset1:78
	s_waitcnt vmcnt(0) lgkmcnt(0)
	v_mul_f32_e32 v0, v4, v8
	v_mul_f32_e32 v8, v3, v8
	v_fmac_f32_e32 v0, v3, v7
	v_fma_f32 v7, v7, v4, -v8
	v_cvt_f64_f32_e32 v[3:4], v0
	v_cvt_f64_f32_e32 v[7:8], v7
	v_mul_f64 v[3:4], v[3:4], s[0:1]
	v_mul_f64 v[7:8], v[7:8], s[0:1]
	v_cvt_f32_f64_e32 v3, v[3:4]
	v_cvt_f32_f64_e32 v4, v[7:8]
	v_add_co_u32 v7, vcc_lo, v29, s2
	v_add_co_ci_u32_e32 v8, vcc_lo, s3, v30, vcc_lo
	v_add_co_u32 v9, vcc_lo, 0x9800, v1
	v_add_co_ci_u32_e32 v10, vcc_lo, 0, v2, vcc_lo
	global_store_dwordx2 v[7:8], v[3:4], off
	global_load_dwordx2 v[3:4], v[9:10], off offset:1024
	v_add_co_u32 v7, vcc_lo, v7, s2
	v_add_co_ci_u32_e32 v8, vcc_lo, s3, v8, vcc_lo
	s_waitcnt vmcnt(0)
	v_mul_f32_e32 v0, v6, v4
	v_mul_f32_e32 v4, v5, v4
	v_fmac_f32_e32 v0, v5, v3
	v_fma_f32 v5, v3, v6, -v4
	v_cvt_f64_f32_e32 v[3:4], v0
	v_cvt_f64_f32_e32 v[5:6], v5
	v_mul_f64 v[3:4], v[3:4], s[0:1]
	v_mul_f64 v[5:6], v[5:6], s[0:1]
	v_cvt_f32_f64_e32 v3, v[3:4]
	v_cvt_f32_f64_e32 v4, v[5:6]
	v_add_co_u32 v5, vcc_lo, 0xa800, v1
	v_add_co_ci_u32_e32 v6, vcc_lo, 0, v2, vcc_lo
	global_store_dwordx2 v[7:8], v[3:4], off
	global_load_dwordx2 v[9:10], v[5:6], off
	ds_read2st64_b64 v[3:6], v76 offset0:84 offset1:90
	v_add_co_u32 v7, vcc_lo, v7, s2
	v_add_co_ci_u32_e32 v8, vcc_lo, s3, v8, vcc_lo
	s_waitcnt vmcnt(0) lgkmcnt(0)
	v_mul_f32_e32 v0, v4, v10
	v_mul_f32_e32 v10, v3, v10
	v_fmac_f32_e32 v0, v3, v9
	v_fma_f32 v9, v9, v4, -v10
	v_cvt_f64_f32_e32 v[3:4], v0
	v_cvt_f64_f32_e32 v[9:10], v9
	v_add_co_u32 v0, vcc_lo, 0xb000, v1
	v_add_co_ci_u32_e32 v1, vcc_lo, 0, v2, vcc_lo
	v_mul_f64 v[3:4], v[3:4], s[0:1]
	v_mul_f64 v[9:10], v[9:10], s[0:1]
	v_cvt_f32_f64_e32 v3, v[3:4]
	v_cvt_f32_f64_e32 v4, v[9:10]
	global_store_dwordx2 v[7:8], v[3:4], off
	global_load_dwordx2 v[0:1], v[0:1], off offset:1024
	s_waitcnt vmcnt(0)
	v_mul_f32_e32 v2, v6, v1
	v_mul_f32_e32 v1, v5, v1
	v_fmac_f32_e32 v2, v5, v0
	v_fma_f32 v3, v0, v6, -v1
	v_cvt_f64_f32_e32 v[0:1], v2
	v_cvt_f64_f32_e32 v[2:3], v3
	v_mul_f64 v[0:1], v[0:1], s[0:1]
	v_mul_f64 v[2:3], v[2:3], s[0:1]
	v_cvt_f32_f64_e32 v0, v[0:1]
	v_cvt_f32_f64_e32 v1, v[2:3]
	v_add_co_u32 v2, vcc_lo, v7, s2
	v_add_co_ci_u32_e32 v3, vcc_lo, s3, v8, vcc_lo
	global_store_dwordx2 v[2:3], v[0:1], off
.LBB0_23:
	s_endpgm
	.section	.rodata,"a",@progbits
	.p2align	6, 0x0
	.amdhsa_kernel bluestein_single_fwd_len6144_dim1_sp_op_CI_CI
		.amdhsa_group_segment_fixed_size 49152
		.amdhsa_private_segment_fixed_size 0
		.amdhsa_kernarg_size 104
		.amdhsa_user_sgpr_count 6
		.amdhsa_user_sgpr_private_segment_buffer 1
		.amdhsa_user_sgpr_dispatch_ptr 0
		.amdhsa_user_sgpr_queue_ptr 0
		.amdhsa_user_sgpr_kernarg_segment_ptr 1
		.amdhsa_user_sgpr_dispatch_id 0
		.amdhsa_user_sgpr_flat_scratch_init 0
		.amdhsa_user_sgpr_private_segment_size 0
		.amdhsa_wavefront_size32 1
		.amdhsa_uses_dynamic_stack 0
		.amdhsa_system_sgpr_private_segment_wavefront_offset 0
		.amdhsa_system_sgpr_workgroup_id_x 1
		.amdhsa_system_sgpr_workgroup_id_y 0
		.amdhsa_system_sgpr_workgroup_id_z 0
		.amdhsa_system_sgpr_workgroup_info 0
		.amdhsa_system_vgpr_workitem_id 0
		.amdhsa_next_free_vgpr 159
		.amdhsa_next_free_sgpr 16
		.amdhsa_reserve_vcc 1
		.amdhsa_reserve_flat_scratch 0
		.amdhsa_float_round_mode_32 0
		.amdhsa_float_round_mode_16_64 0
		.amdhsa_float_denorm_mode_32 3
		.amdhsa_float_denorm_mode_16_64 3
		.amdhsa_dx10_clamp 1
		.amdhsa_ieee_mode 1
		.amdhsa_fp16_overflow 0
		.amdhsa_workgroup_processor_mode 1
		.amdhsa_memory_ordered 1
		.amdhsa_forward_progress 0
		.amdhsa_shared_vgpr_count 0
		.amdhsa_exception_fp_ieee_invalid_op 0
		.amdhsa_exception_fp_denorm_src 0
		.amdhsa_exception_fp_ieee_div_zero 0
		.amdhsa_exception_fp_ieee_overflow 0
		.amdhsa_exception_fp_ieee_underflow 0
		.amdhsa_exception_fp_ieee_inexact 0
		.amdhsa_exception_int_div_zero 0
	.end_amdhsa_kernel
	.text
.Lfunc_end0:
	.size	bluestein_single_fwd_len6144_dim1_sp_op_CI_CI, .Lfunc_end0-bluestein_single_fwd_len6144_dim1_sp_op_CI_CI
                                        ; -- End function
	.section	.AMDGPU.csdata,"",@progbits
; Kernel info:
; codeLenInByte = 13196
; NumSgprs: 18
; NumVgprs: 159
; ScratchSize: 0
; MemoryBound: 0
; FloatMode: 240
; IeeeMode: 1
; LDSByteSize: 49152 bytes/workgroup (compile time only)
; SGPRBlocks: 2
; VGPRBlocks: 19
; NumSGPRsForWavesPerEU: 18
; NumVGPRsForWavesPerEU: 159
; Occupancy: 6
; WaveLimiterHint : 1
; COMPUTE_PGM_RSRC2:SCRATCH_EN: 0
; COMPUTE_PGM_RSRC2:USER_SGPR: 6
; COMPUTE_PGM_RSRC2:TRAP_HANDLER: 0
; COMPUTE_PGM_RSRC2:TGID_X_EN: 1
; COMPUTE_PGM_RSRC2:TGID_Y_EN: 0
; COMPUTE_PGM_RSRC2:TGID_Z_EN: 0
; COMPUTE_PGM_RSRC2:TIDIG_COMP_CNT: 0
	.text
	.p2alignl 6, 3214868480
	.fill 48, 4, 3214868480
	.type	__hip_cuid_5e926eb0fc38302d,@object ; @__hip_cuid_5e926eb0fc38302d
	.section	.bss,"aw",@nobits
	.globl	__hip_cuid_5e926eb0fc38302d
__hip_cuid_5e926eb0fc38302d:
	.byte	0                               ; 0x0
	.size	__hip_cuid_5e926eb0fc38302d, 1

	.ident	"AMD clang version 19.0.0git (https://github.com/RadeonOpenCompute/llvm-project roc-6.4.0 25133 c7fe45cf4b819c5991fe208aaa96edf142730f1d)"
	.section	".note.GNU-stack","",@progbits
	.addrsig
	.addrsig_sym __hip_cuid_5e926eb0fc38302d
	.amdgpu_metadata
---
amdhsa.kernels:
  - .args:
      - .actual_access:  read_only
        .address_space:  global
        .offset:         0
        .size:           8
        .value_kind:     global_buffer
      - .actual_access:  read_only
        .address_space:  global
        .offset:         8
        .size:           8
        .value_kind:     global_buffer
      - .actual_access:  read_only
        .address_space:  global
        .offset:         16
        .size:           8
        .value_kind:     global_buffer
      - .actual_access:  read_only
        .address_space:  global
        .offset:         24
        .size:           8
        .value_kind:     global_buffer
      - .actual_access:  read_only
        .address_space:  global
        .offset:         32
        .size:           8
        .value_kind:     global_buffer
      - .offset:         40
        .size:           8
        .value_kind:     by_value
      - .address_space:  global
        .offset:         48
        .size:           8
        .value_kind:     global_buffer
      - .address_space:  global
        .offset:         56
        .size:           8
        .value_kind:     global_buffer
      - .address_space:  global
        .offset:         64
        .size:           8
        .value_kind:     global_buffer
      - .address_space:  global
        .offset:         72
        .size:           8
        .value_kind:     global_buffer
      - .offset:         80
        .size:           4
        .value_kind:     by_value
      - .address_space:  global
        .offset:         88
        .size:           8
        .value_kind:     global_buffer
      - .address_space:  global
        .offset:         96
        .size:           8
        .value_kind:     global_buffer
    .group_segment_fixed_size: 49152
    .kernarg_segment_align: 8
    .kernarg_segment_size: 104
    .language:       OpenCL C
    .language_version:
      - 2
      - 0
    .max_flat_workgroup_size: 512
    .name:           bluestein_single_fwd_len6144_dim1_sp_op_CI_CI
    .private_segment_fixed_size: 0
    .sgpr_count:     18
    .sgpr_spill_count: 0
    .symbol:         bluestein_single_fwd_len6144_dim1_sp_op_CI_CI.kd
    .uniform_work_group_size: 1
    .uses_dynamic_stack: false
    .vgpr_count:     159
    .vgpr_spill_count: 0
    .wavefront_size: 32
    .workgroup_processor_mode: 1
amdhsa.target:   amdgcn-amd-amdhsa--gfx1030
amdhsa.version:
  - 1
  - 2
...

	.end_amdgpu_metadata
